;; amdgpu-corpus repo=zjin-lcf/HeCBench kind=compiled arch=gfx1030 opt=O3
	.amdgcn_target "amdgcn-amd-amdhsa--gfx1030"
	.amdhsa_code_object_version 6
	.text
	.protected	_Z8loss_bwdI6__halfS0_EvPKT_PKT0_S6_PKlS3_S8_PS4_ ; -- Begin function _Z8loss_bwdI6__halfS0_EvPKT_PKT0_S6_PKlS3_S8_PS4_
	.globl	_Z8loss_bwdI6__halfS0_EvPKT_PKT0_S6_PKlS3_S8_PS4_
	.p2align	8
	.type	_Z8loss_bwdI6__halfS0_EvPKT_PKT0_S6_PKlS3_S8_PS4_,@function
_Z8loss_bwdI6__halfS0_EvPKT_PKT0_S6_PKlS3_S8_PS4_: ; @_Z8loss_bwdI6__halfS0_EvPKT_PKT0_S6_PKlS3_S8_PS4_
; %bb.0:
	v_lshl_add_u32 v0, s6, 6, v0
	s_mov_b32 s0, exec_lo
	v_cmpx_gt_i32_e32 0x221c, v0
	s_cbranch_execz .LBB0_4
; %bb.1:
	s_load_dwordx8 s[8:15], s[4:5], 0x18
	v_mad_u64_u32 v[2:3], null, 0x221c, s7, v[0:1]
	s_load_dwordx4 s[0:3], s[4:5], 0x0
	v_ashrrev_i32_e32 v3, 31, v2
	v_lshlrev_b64 v[0:1], 3, v[2:3]
	v_lshlrev_b64 v[5:6], 1, v[2:3]
	s_waitcnt lgkmcnt(0)
	v_add_co_u32 v3, vcc_lo, s12, v0
	v_add_co_ci_u32_e64 v4, null, s13, v1, vcc_lo
	v_add_co_u32 v0, vcc_lo, s8, v0
	v_add_co_ci_u32_e64 v1, null, s9, v1, vcc_lo
	;; [unrolled: 2-line block ×3, first 2 shown]
	global_load_dwordx2 v[3:4], v[3:4], off
	global_load_dwordx2 v[0:1], v[0:1], off
	global_load_ushort v9, v[7:8], off
	s_mov_b32 s2, exec_lo
	s_waitcnt vmcnt(2)
	v_cmpx_ne_u64_e32 0, v[3:4]
	s_cbranch_execz .LBB0_3
; %bb.2:
	s_load_dwordx2 s[4:5], s[4:5], 0x10
	s_waitcnt lgkmcnt(0)
	v_add_co_u32 v3, vcc_lo, s4, v5
	v_add_co_ci_u32_e64 v4, null, s5, v6, vcc_lo
	global_load_ushort v1, v[3:4], off
	s_waitcnt vmcnt(0)
	v_add_f16_e32 v9, v9, v1
.LBB0_3:
	s_or_b32 exec_lo, exec_lo, s2
	s_waitcnt vmcnt(1)
	v_mad_u64_u32 v[1:2], null, 0xaa8c0, s7, v[2:3]
	v_add_nc_u32_e32 v2, 0xeec4, v1
	v_add_nc_u32_e32 v17, 0xcca8, v1
	;; [unrolled: 1-line block ×5, first 2 shown]
	v_ashrrev_i32_e32 v3, 31, v2
	v_mad_u64_u32 v[7:8], null, 0x221c, v0, v[1:2]
	v_ashrrev_i32_e32 v18, 31, v17
	v_ashrrev_i32_e32 v26, 31, v25
	v_lshlrev_b64 v[3:4], 1, v[2:3]
	v_ashrrev_i32_e32 v2, 31, v1
	v_ashrrev_i32_e32 v28, 31, v27
	v_lshlrev_b64 v[44:45], 1, v[17:18]
	v_ashrrev_i32_e32 v8, 31, v7
	v_ashrrev_i32_e32 v30, 31, v29
	v_add_co_u32 v10, vcc_lo, s0, v3
	v_add_co_ci_u32_e64 v11, null, s1, v4, vcc_lo
	v_lshlrev_b64 v[7:8], 1, v[7:8]
	v_add_co_u32 v14, vcc_lo, s10, v5
	global_load_ushort v13, v[10:11], off
	v_add_nc_u32_e32 v10, 0x110e0, v1
	v_add_co_ci_u32_e64 v15, null, s11, v6, vcc_lo
	v_add_co_u32 v7, vcc_lo, s0, v7
	v_ashrrev_i32_e32 v11, 31, v10
	v_add_co_ci_u32_e64 v8, null, s1, v8, vcc_lo
	global_load_ushort v16, v[14:15], off
	global_load_ushort v20, v[7:8], off
	v_lshlrev_b64 v[5:6], 1, v[10:11]
	v_lshlrev_b64 v[46:47], 1, v[25:26]
	v_lshlrev_b64 v[57:58], 1, v[27:28]
	v_lshlrev_b64 v[26:27], 1, v[29:30]
	v_add_nc_u32_e32 v55, 0x221c0, v1
	v_add_co_u32 v7, vcc_lo, s0, v5
	v_add_co_ci_u32_e64 v8, null, s1, v6, vcc_lo
	v_ashrrev_i32_e32 v56, 31, v55
	global_load_ushort v21, v[7:8], off
	v_add_nc_u32_e32 v7, 0x132fc, v1
	v_ashrrev_i32_e32 v8, 31, v7
	v_lshlrev_b64 v[7:8], 1, v[7:8]
	v_add_co_u32 v10, vcc_lo, s0, v7
	v_add_co_ci_u32_e64 v11, null, s1, v8, vcc_lo
	global_load_ushort v22, v[10:11], off
	v_lshlrev_b64 v[10:11], 1, v[1:2]
	v_add_co_u32 v14, vcc_lo, s0, v10
	v_add_co_ci_u32_e64 v15, null, s1, v11, vcc_lo
	global_load_ushort v12, v[14:15], off
	v_add_nc_u32_e32 v14, 0x221c, v1
	v_ashrrev_i32_e32 v15, 31, v14
	v_lshlrev_b64 v[23:24], 1, v[14:15]
	v_add_co_u32 v14, vcc_lo, s0, v23
	v_add_co_ci_u32_e64 v15, null, s1, v24, vcc_lo
	global_load_ushort v38, v[14:15], off
	v_add_nc_u32_e32 v14, 0x4438, v1
	v_ashrrev_i32_e32 v15, 31, v14
	;; [unrolled: 6-line block ×5, first 2 shown]
	v_lshlrev_b64 v[41:42], 1, v[14:15]
	v_add_co_u32 v14, vcc_lo, s0, v41
	v_add_co_ci_u32_e64 v15, null, s1, v42, vcc_lo
	v_add_co_u32 v17, vcc_lo, s0, v44
	v_add_co_ci_u32_e64 v18, null, s1, v45, vcc_lo
	;; [unrolled: 2-line block ×5, first 2 shown]
	s_clause 0x4
	global_load_ushort v50, v[28:29], off
	global_load_ushort v53, v[30:31], off
	;; [unrolled: 1-line block ×5, first 2 shown]
	v_add_nc_u32_e32 v14, 0x1bb6c, v1
	v_add_co_u32 v59, vcc_lo, s14, v10
	v_add_nc_u32_e32 v17, 0x1dd88, v1
	v_add_co_ci_u32_e64 v60, null, s15, v11, vcc_lo
	v_ashrrev_i32_e32 v15, 31, v14
	v_add_nc_u32_e32 v51, 0x1ffa4, v1
	v_ashrrev_i32_e32 v18, 31, v17
	v_lshlrev_b64 v[28:29], 1, v[14:15]
	v_lshlrev_b64 v[14:15], 1, v[55:56]
	v_lshlrev_b64 v[30:31], 1, v[17:18]
	v_ashrrev_i32_e32 v52, 31, v51
	v_add_co_u32 v10, vcc_lo, s0, v28
	v_add_co_ci_u32_e64 v11, null, s1, v29, vcc_lo
	v_add_co_u32 v61, vcc_lo, s14, v23
	v_add_co_ci_u32_e64 v62, null, s15, v24, vcc_lo
	global_load_ushort v56, v[10:11], off
	v_add_co_u32 v63, vcc_lo, s14, v32
	v_add_co_ci_u32_e64 v64, null, s15, v33, vcc_lo
	v_add_co_u32 v23, vcc_lo, s0, v30
	v_add_co_ci_u32_e64 v24, null, s1, v31, vcc_lo
	v_lshlrev_b64 v[18:19], 1, v[51:52]
	global_load_ushort v55, v[23:24], off
	v_add_co_u32 v10, vcc_lo, s14, v34
	v_add_co_ci_u32_e64 v11, null, s15, v35, vcc_lo
	v_add_co_u32 v36, vcc_lo, s14, v36
	v_add_co_ci_u32_e64 v37, null, s15, v37, vcc_lo
	v_add_co_u32 v32, vcc_lo, s14, v41
	v_add_co_ci_u32_e64 v33, null, s15, v42, vcc_lo
	v_add_co_u32 v34, vcc_lo, s14, v44
	v_add_co_ci_u32_e64 v35, null, s15, v45, vcc_lo
	v_add_co_u32 v3, vcc_lo, s14, v3
	v_add_co_ci_u32_e64 v4, null, s15, v4, vcc_lo
	v_add_co_u32 v5, vcc_lo, s14, v5
	v_add_co_ci_u32_e64 v6, null, s15, v6, vcc_lo
	v_add_co_u32 v7, vcc_lo, s14, v7
	v_add_co_ci_u32_e64 v8, null, s15, v8, vcc_lo
	v_add_co_u32 v23, vcc_lo, s0, v18
	v_add_co_ci_u32_e64 v24, null, s1, v19, vcc_lo
	global_load_ushort v51, v[23:24], off
	s_waitcnt vmcnt(17)
	v_cvt_f32_f16_e32 v13, v13
	v_mul_f32_e32 v13, 0x3fb8aa3b, v13
	s_waitcnt vmcnt(16)
	v_mul_f16_e64 v44, v16, -v9
	v_exp_f32_e32 v13, v13
	v_add_co_u32 v16, vcc_lo, s14, v46
	v_add_co_ci_u32_e64 v17, null, s15, v47, vcc_lo
	s_waitcnt vmcnt(15)
	v_mul_f16_e32 v45, v44, v20
	v_add_co_u32 v24, vcc_lo, s14, v57
	v_add_co_ci_u32_e64 v25, null, s15, v58, vcc_lo
	v_cvt_f16_f32_e32 v9, v13
	v_add_co_u32 v20, vcc_lo, s0, v14
	v_cvt_f32_f16_e32 v46, v45
	s_waitcnt vmcnt(14)
	v_cvt_f32_f16_e32 v13, v21
	v_add_co_ci_u32_e64 v21, null, s1, v15, vcc_lo
	v_cvt_f32_f16_e32 v23, v9
	v_fma_mix_f32 v9, -v45, v9, v44 op_sel_hi:[1,1,1]
	v_cmp_eq_u32_e32 vcc_lo, 7, v0
	global_load_ushort v52, v[20:21], off
	v_add_nc_u32_e32 v20, 0x243dc, v1
	v_mul_f32_e64 v23, v46, -v23
	v_mul_f32_e32 v13, 0x3fb8aa3b, v13
	v_ashrrev_i32_e32 v21, 31, v20
	v_cndmask_b32_e32 v9, v23, v9, vcc_lo
	v_exp_f32_e32 v13, v13
	v_lshlrev_b64 v[20:21], 1, v[20:21]
	v_cvt_f16_f32_e32 v9, v9
	global_store_short v[3:4], v9, off
	s_waitcnt vmcnt(14)
	v_cvt_f32_f16_e32 v22, v22
	v_add_co_u32 v3, vcc_lo, s0, v20
	v_cvt_f16_f32_e32 v13, v13
	v_add_co_ci_u32_e64 v4, null, s1, v21, vcc_lo
	v_mul_f32_e32 v22, 0x3fb8aa3b, v22
	v_cmp_eq_u32_e32 vcc_lo, 8, v0
	v_cvt_f32_f16_e32 v9, v13
	global_load_ushort v41, v[3:4], off
	v_add_nc_u32_e32 v3, 0x265f8, v1
	v_exp_f32_e32 v22, v22
	v_fma_mix_f32 v13, -v45, v13, v44 op_sel_hi:[1,1,1]
	v_mul_f32_e64 v9, v46, -v9
	s_waitcnt vmcnt(14)
	v_cvt_f32_f16_e32 v12, v12
	v_ashrrev_i32_e32 v4, 31, v3
	v_cndmask_b32_e32 v9, v9, v13, vcc_lo
	v_cvt_f16_f32_e32 v13, v22
	v_lshlrev_b64 v[22:23], 1, v[3:4]
	v_cvt_f16_f32_e32 v9, v9
	v_add_co_u32 v3, vcc_lo, s0, v22
	v_add_co_ci_u32_e64 v4, null, s1, v23, vcc_lo
	global_store_short v[5:6], v9, off
	v_cvt_f32_f16_e32 v5, v13
	v_mul_f32_e32 v6, 0x3fb8aa3b, v12
	global_load_ushort v39, v[3:4], off
	v_add_nc_u32_e32 v3, 0x28814, v1
	v_fma_mix_f32 v9, -v45, v13, v44 op_sel_hi:[1,1,1]
	v_mul_f32_e64 v5, v46, -v5
	v_cmp_eq_u32_e32 vcc_lo, 9, v0
	v_exp_f32_e32 v6, v6
	v_ashrrev_i32_e32 v4, 31, v3
	v_cndmask_b32_e32 v5, v5, v9, vcc_lo
	s_waitcnt vmcnt(14)
	v_cvt_f32_f16_e32 v9, v38
	v_lshlrev_b64 v[12:13], 1, v[3:4]
	v_cvt_f16_f32_e32 v5, v5
	v_cvt_f16_f32_e32 v6, v6
	v_add_co_u32 v3, vcc_lo, s0, v12
	v_add_co_ci_u32_e64 v4, null, s1, v13, vcc_lo
	global_store_short v[7:8], v5, off
	v_mul_f32_e32 v7, 0x3fb8aa3b, v9
	v_cvt_f32_f16_e32 v5, v6
	global_load_ushort v38, v[3:4], off
	v_add_nc_u32_e32 v3, 0x2aa30, v1
	v_fma_mix_f32 v6, -v45, v6, v44 op_sel_hi:[1,1,1]
	v_exp_f32_e32 v7, v7
	v_mul_f32_e64 v5, v46, -v5
	v_cmp_eq_u32_e32 vcc_lo, 0, v0
	v_ashrrev_i32_e32 v4, 31, v3
	s_waitcnt vmcnt(14)
	v_cvt_f32_f16_e32 v9, v40
	v_cndmask_b32_e32 v5, v5, v6, vcc_lo
	v_mul_f32_e32 v9, 0x3fb8aa3b, v9
	v_cvt_f16_f32_e32 v8, v7
	v_lshlrev_b64 v[6:7], 1, v[3:4]
	v_cvt_f16_f32_e32 v5, v5
	v_exp_f32_e32 v9, v9
	v_add_co_u32 v3, vcc_lo, s0, v6
	v_add_co_ci_u32_e64 v4, null, s1, v7, vcc_lo
	global_store_short v[59:60], v5, off
	v_cvt_f32_f16_e32 v5, v8
	v_fma_mix_f32 v8, -v45, v8, v44 op_sel_hi:[1,1,1]
	global_load_ushort v40, v[3:4], off
	v_cmp_eq_u32_e32 vcc_lo, 1, v0
	v_add_nc_u32_e32 v3, 0x2cc4c, v1
	v_mul_f32_e64 v5, v46, -v5
	s_waitcnt vmcnt(14)
	v_cvt_f32_f16_e32 v42, v2
	v_cvt_f16_f32_e32 v9, v9
	v_ashrrev_i32_e32 v4, 31, v3
	v_cndmask_b32_e32 v5, v5, v8, vcc_lo
	v_mul_f32_e32 v47, 0x3fb8aa3b, v42
	v_cvt_f16_f32_e32 v8, v5
	v_lshlrev_b64 v[4:5], 1, v[3:4]
	v_exp_f32_e32 v47, v47
	global_store_short v[61:62], v8, off
	v_cvt_f32_f16_e32 v8, v9
	v_add_co_u32 v2, vcc_lo, s0, v4
	v_add_co_ci_u32_e64 v3, null, s1, v5, vcc_lo
	v_fma_mix_f32 v9, -v45, v9, v44 op_sel_hi:[1,1,1]
	v_mul_f32_e64 v8, v46, -v8
	v_cmp_eq_u32_e32 vcc_lo, 2, v0
	global_load_ushort v42, v[2:3], off
	v_add_nc_u32_e32 v2, 0x2ee68, v1
	v_cvt_f16_f32_e32 v47, v47
	s_waitcnt vmcnt(14)
	v_cvt_f32_f16_e32 v43, v43
	v_cndmask_b32_e32 v8, v8, v9, vcc_lo
	v_ashrrev_i32_e32 v3, 31, v2
	v_cvt_f32_f16_e32 v57, v47
	v_mul_f32_e32 v58, 0x3fb8aa3b, v43
	v_cvt_f16_f32_e32 v8, v8
	v_fma_mix_f32 v47, -v45, v47, v44 op_sel_hi:[1,1,1]
	v_lshlrev_b64 v[2:3], 1, v[2:3]
	v_mul_f32_e64 v57, v46, -v57
	v_exp_f32_e32 v58, v58
	global_store_short v[63:64], v8, off
	v_add_co_u32 v8, vcc_lo, s0, v2
	v_add_co_ci_u32_e64 v9, null, s1, v3, vcc_lo
	v_cmp_eq_u32_e32 vcc_lo, 3, v0
	global_load_ushort v43, v[8:9], off
	v_add_nc_u32_e32 v8, 0x31084, v1
	v_cndmask_b32_e32 v47, v57, v47, vcc_lo
	v_cvt_f16_f32_e32 v57, v58
	v_ashrrev_i32_e32 v9, 31, v8
	v_cvt_f16_f32_e32 v47, v47
	s_waitcnt vmcnt(14)
	v_cvt_f32_f16_e32 v50, v50
	s_waitcnt vmcnt(12)
	v_cvt_f32_f16_e32 v48, v48
	;; [unrolled: 2-line block ×3, first 2 shown]
	v_lshlrev_b64 v[8:9], 1, v[8:9]
	global_store_short v[10:11], v47, off
	v_cvt_f32_f16_e32 v47, v57
	v_mul_f32_e32 v50, 0x3fb8aa3b, v50
	v_fma_mix_f32 v57, -v45, v57, v44 op_sel_hi:[1,1,1]
	v_mul_f32_e32 v48, 0x3fb8aa3b, v48
	v_add_co_u32 v10, vcc_lo, s0, v8
	v_add_co_ci_u32_e64 v11, null, s1, v9, vcc_lo
	v_mul_f32_e64 v58, v46, -v47
	v_cmp_eq_u32_e32 vcc_lo, 4, v0
	v_exp_f32_e32 v50, v50
	v_mul_f32_e32 v49, 0x3fb8aa3b, v49
	v_exp_f32_e32 v48, v48
	v_cvt_f32_f16_e32 v53, v53
	v_cndmask_b32_e32 v57, v58, v57, vcc_lo
	v_cmp_eq_u32_e32 vcc_lo, 10, v0
	v_exp_f32_e32 v49, v49
	global_load_ushort v47, v[10:11], off
	v_mul_f32_e32 v53, 0x3fb8aa3b, v53
	v_cvt_f16_f32_e32 v57, v57
	v_cvt_f16_f32_e32 v50, v50
	v_add_nc_u32_e32 v10, 0x332a0, v1
	v_cvt_f16_f32_e32 v48, v48
	v_exp_f32_e32 v53, v53
	global_store_short v[36:37], v57, off
	v_cvt_f32_f16_e32 v36, v50
	v_cvt_f16_f32_e32 v49, v49
	v_fma_mix_f32 v37, -v45, v50, v44 op_sel_hi:[1,1,1]
	v_cvt_f32_f16_e32 v50, v48
	v_fma_mix_f32 v48, -v45, v48, v44 op_sel_hi:[1,1,1]
	v_mul_f32_e64 v36, v46, -v36
	v_cvt_f32_f16_e32 v57, v49
	v_fma_mix_f32 v49, -v45, v49, v44 op_sel_hi:[1,1,1]
	v_mul_f32_e64 v50, v46, -v50
	v_ashrrev_i32_e32 v11, 31, v10
	v_cndmask_b32_e32 v58, v36, v37, vcc_lo
	v_cmp_eq_u32_e32 vcc_lo, 5, v0
	v_mul_f32_e64 v57, v46, -v57
	v_cvt_f16_f32_e32 v53, v53
	v_lshlrev_b64 v[10:11], 1, v[10:11]
	s_waitcnt vmcnt(11)
	v_cvt_f32_f16_e32 v54, v54
	v_cndmask_b32_e32 v48, v50, v48, vcc_lo
	v_cmp_eq_u32_e32 vcc_lo, 6, v0
	v_cvt_f32_f16_e32 v59, v53
	v_fma_mix_f32 v50, -v45, v53, v44 op_sel_hi:[1,1,1]
	v_mul_f32_e32 v54, 0x3fb8aa3b, v54
	v_cvt_f16_f32_e32 v48, v48
	v_cndmask_b32_e32 v49, v57, v49, vcc_lo
	v_add_co_u32 v36, vcc_lo, s0, v10
	v_add_co_ci_u32_e64 v37, null, s1, v11, vcc_lo
	v_cvt_f16_f32_e32 v49, v49
	v_mul_f32_e64 v53, v46, -v59
	v_cmp_eq_u32_e32 vcc_lo, 11, v0
	global_store_short v[32:33], v48, off
	global_store_short v[34:35], v49, off
	v_add_nc_u32_e32 v32, 0x354bc, v1
	global_load_ushort v48, v[36:37], off
	v_cndmask_b32_e32 v50, v53, v50, vcc_lo
	v_cvt_f16_f32_e32 v53, v58
	v_exp_f32_e32 v54, v54
	v_ashrrev_i32_e32 v33, 31, v32
	s_waitcnt vmcnt(11)
	v_cvt_f32_f16_e32 v34, v56
	v_cvt_f16_f32_e32 v35, v50
	global_store_short v[16:17], v53, off
	v_lshlrev_b64 v[16:17], 1, v[32:33]
	v_mul_f32_e32 v34, 0x3fb8aa3b, v34
	global_store_short v[24:25], v35, off
	v_add_nc_u32_e32 v24, 0x376d8, v1
	v_cvt_f16_f32_e32 v54, v54
	v_add_co_u32 v32, vcc_lo, s0, v16
	v_add_co_ci_u32_e64 v33, null, s1, v17, vcc_lo
	v_exp_f32_e32 v34, v34
	v_fma_mix_f32 v35, -v45, v54, v44 op_sel_hi:[1,1,1]
	v_cmp_eq_u32_e32 vcc_lo, 12, v0
	global_load_ushort v49, v[32:33], off
	v_cvt_f32_f16_e32 v36, v54
	s_waitcnt vmcnt(11)
	v_cvt_f32_f16_e32 v37, v55
	v_ashrrev_i32_e32 v25, 31, v24
	v_mul_f32_e64 v36, v46, -v36
	v_lshlrev_b64 v[24:25], 1, v[24:25]
	v_cndmask_b32_e32 v35, v36, v35, vcc_lo
	v_cvt_f16_f32_e32 v36, v34
	v_mul_f32_e32 v34, 0x3fb8aa3b, v37
	v_add_co_u32 v26, vcc_lo, s14, v26
	v_add_co_ci_u32_e64 v27, null, s15, v27, vcc_lo
	v_exp_f32_e32 v53, v34
	v_add_nc_u32_e32 v34, 0x398f4, v1
	v_add_co_u32 v32, vcc_lo, s0, v24
	v_cvt_f32_f16_e32 v37, v36
	v_add_co_ci_u32_e64 v33, null, s1, v25, vcc_lo
	v_cvt_f16_f32_e32 v54, v35
	v_ashrrev_i32_e32 v35, 31, v34
	v_fma_mix_f32 v36, -v45, v36, v44 op_sel_hi:[1,1,1]
	v_mul_f32_e64 v37, v46, -v37
	global_load_ushort v50, v[32:33], off
	v_cmp_eq_u32_e32 vcc_lo, 13, v0
	global_store_short v[26:27], v54, off
	v_lshlrev_b64 v[26:27], 1, v[34:35]
	v_add_nc_u32_e32 v34, 0x3bb10, v1
	v_cndmask_b32_e32 v36, v37, v36, vcc_lo
	v_add_co_u32 v32, vcc_lo, s14, v28
	v_add_co_ci_u32_e64 v33, null, s15, v29, vcc_lo
	v_add_co_u32 v28, vcc_lo, s0, v26
	v_add_co_ci_u32_e64 v29, null, s1, v27, vcc_lo
	v_cvt_f16_f32_e32 v37, v53
	v_cvt_f16_f32_e32 v53, v36
	s_waitcnt vmcnt(11)
	v_cvt_f32_f16_e32 v36, v51
	global_load_ushort v51, v[28:29], off
	v_cmp_eq_u32_e32 vcc_lo, 14, v0
	v_cvt_f32_f16_e32 v35, v37
	v_fma_mix_f32 v37, -v45, v37, v44 op_sel_hi:[1,1,1]
	v_mul_f32_e32 v36, 0x3fb8aa3b, v36
	v_mul_f32_e64 v54, v46, -v35
	v_ashrrev_i32_e32 v35, 31, v34
	v_exp_f32_e32 v55, v36
	v_cndmask_b32_e32 v54, v54, v37, vcc_lo
	v_lshlrev_b64 v[28:29], 1, v[34:35]
	v_add_co_u32 v30, vcc_lo, s14, v30
	v_add_nc_u32_e32 v34, 0x3dd2c, v1
	v_add_co_ci_u32_e64 v31, null, s15, v31, vcc_lo
	v_cvt_f16_f32_e32 v54, v54
	v_cvt_f16_f32_e32 v55, v55
	s_waitcnt vmcnt(11)
	v_cvt_f32_f16_e32 v36, v52
	v_mul_f32_e32 v35, 0x3fb8aa3b, v36
	v_add_co_u32 v36, vcc_lo, s0, v28
	v_add_co_ci_u32_e64 v37, null, s1, v29, vcc_lo
	v_exp_f32_e32 v56, v35
	v_ashrrev_i32_e32 v35, 31, v34
	global_load_ushort v52, v[36:37], off
	global_store_short v[32:33], v53, off
	global_store_short v[30:31], v54, off
	v_add_nc_u32_e32 v32, 0x3ff48, v1
	v_lshlrev_b64 v[30:31], 1, v[34:35]
	v_cvt_f32_f16_e32 v36, v55
	v_fma_mix_f32 v37, -v45, v55, v44 op_sel_hi:[1,1,1]
	v_ashrrev_i32_e32 v33, 31, v32
	v_cvt_f16_f32_e32 v53, v56
	v_add_co_u32 v34, vcc_lo, s0, v30
	v_add_co_ci_u32_e64 v35, null, s1, v31, vcc_lo
	v_mul_f32_e64 v36, v46, -v36
	v_cmp_eq_u32_e32 vcc_lo, 15, v0
	v_lshlrev_b64 v[32:33], 1, v[32:33]
	global_load_ushort v56, v[34:35], off
	s_waitcnt vmcnt(12)
	v_cvt_f32_f16_e32 v41, v41
	v_cndmask_b32_e32 v36, v36, v37, vcc_lo
	v_cvt_f32_f16_e32 v37, v53
	v_add_co_u32 v18, vcc_lo, s14, v18
	v_add_co_ci_u32_e64 v19, null, s15, v19, vcc_lo
	v_mul_f32_e32 v41, 0x3fb8aa3b, v41
	v_add_co_u32 v34, vcc_lo, s0, v32
	v_fma_mix_f32 v53, -v45, v53, v44 op_sel_hi:[1,1,1]
	v_mul_f32_e64 v37, v46, -v37
	v_add_co_ci_u32_e64 v35, null, s1, v33, vcc_lo
	v_cmp_eq_u32_e32 vcc_lo, 16, v0
	v_exp_f32_e32 v41, v41
	v_cvt_f16_f32_e32 v36, v36
	v_cndmask_b32_e32 v37, v37, v53, vcc_lo
	global_load_ushort v53, v[34:35], off
	v_add_nc_u32_e32 v34, 0x42164, v1
	s_waitcnt vmcnt(12)
	v_cvt_f32_f16_e32 v39, v39
	v_add_co_u32 v14, vcc_lo, s14, v14
	v_add_co_ci_u32_e64 v15, null, s15, v15, vcc_lo
	v_ashrrev_i32_e32 v35, 31, v34
	v_cvt_f16_f32_e32 v41, v41
	v_cvt_f16_f32_e32 v37, v37
	global_store_short v[18:19], v36, off
	v_mul_f32_e32 v18, 0x3fb8aa3b, v39
	v_lshlrev_b64 v[34:35], 1, v[34:35]
	v_cvt_f32_f16_e32 v19, v41
	global_store_short v[14:15], v37, off
	v_fma_mix_f32 v36, -v45, v41, v44 op_sel_hi:[1,1,1]
	v_exp_f32_e32 v37, v18
	v_add_nc_u32_e32 v18, 0x44380, v1
	v_add_co_u32 v14, vcc_lo, s0, v34
	v_mul_f32_e64 v39, v46, -v19
	v_add_co_ci_u32_e64 v15, null, s1, v35, vcc_lo
	v_ashrrev_i32_e32 v19, 31, v18
	v_cmp_eq_u32_e32 vcc_lo, 17, v0
	global_load_ushort v14, v[14:15], off
	s_waitcnt vmcnt(12)
	v_cvt_f32_f16_e32 v38, v38
	v_cndmask_b32_e32 v41, v39, v36, vcc_lo
	v_cvt_f16_f32_e32 v39, v37
	v_lshlrev_b64 v[36:37], 1, v[18:19]
	v_add_co_u32 v18, vcc_lo, s14, v20
	v_add_co_ci_u32_e64 v19, null, s15, v21, vcc_lo
	v_cvt_f32_f16_e32 v15, v39
	v_add_co_u32 v54, vcc_lo, s0, v36
	v_add_co_ci_u32_e64 v55, null, s1, v37, vcc_lo
	v_add_nc_u32_e32 v20, 0x4659c, v1
	v_mul_f32_e64 v58, v46, -v15
	v_add_co_u32 v22, vcc_lo, s14, v22
	global_load_ushort v15, v[54:55], off
	v_ashrrev_i32_e32 v21, 31, v20
	v_add_co_ci_u32_e64 v23, null, s15, v23, vcc_lo
	v_mul_f32_e32 v54, 0x3fb8aa3b, v38
	v_fma_mix_f32 v57, -v45, v39, v44 op_sel_hi:[1,1,1]
	v_lshlrev_b64 v[20:21], 1, v[20:21]
	v_cvt_f16_f32_e32 v41, v41
	v_add_co_u32 v38, vcc_lo, s0, v20
	v_add_co_ci_u32_e64 v39, null, s1, v21, vcc_lo
	v_cmp_eq_u32_e32 vcc_lo, 18, v0
	v_cndmask_b32_e32 v55, v58, v57, vcc_lo
	v_exp_f32_e32 v57, v54
	global_load_ushort v54, v[38:39], off
	v_add_nc_u32_e32 v38, 0x487b8, v1
	s_waitcnt vmcnt(13)
	v_cvt_f32_f16_e32 v58, v40
	v_cvt_f16_f32_e32 v55, v55
	global_store_short v[18:19], v41, off
	global_store_short v[22:23], v55, off
	v_ashrrev_i32_e32 v39, 31, v38
	v_cvt_f16_f32_e32 v57, v57
	v_add_nc_u32_e32 v18, 0x4a9d4, v1
	s_waitcnt vmcnt(12)
	v_cvt_f32_f16_e32 v42, v42
	v_lshlrev_b64 v[38:39], 1, v[38:39]
	v_cvt_f32_f16_e32 v41, v57
	v_ashrrev_i32_e32 v19, 31, v18
	v_fma_mix_f32 v55, -v45, v57, v44 op_sel_hi:[1,1,1]
	v_add_co_u32 v22, vcc_lo, s0, v38
	v_add_co_ci_u32_e64 v23, null, s1, v39, vcc_lo
	v_mul_f32_e64 v57, v46, -v41
	v_lshlrev_b64 v[40:41], 1, v[18:19]
	v_add_co_u32 v12, vcc_lo, s14, v12
	global_load_ushort v59, v[22:23], off
	v_add_co_ci_u32_e64 v13, null, s15, v13, vcc_lo
	v_add_co_u32 v18, vcc_lo, s0, v40
	v_mul_f32_e32 v22, 0x3fb8aa3b, v58
	v_add_co_ci_u32_e64 v19, null, s1, v41, vcc_lo
	v_cmp_eq_u32_e32 vcc_lo, 19, v0
	v_exp_f32_e32 v22, v22
	global_load_ushort v58, v[18:19], off
	v_add_nc_u32_e32 v18, 0x4cbf0, v1
	v_cndmask_b32_e32 v23, v57, v55, vcc_lo
	v_ashrrev_i32_e32 v19, 31, v18
	v_cvt_f16_f32_e32 v55, v23
	v_cvt_f16_f32_e32 v57, v22
	v_lshlrev_b64 v[22:23], 1, v[18:19]
	global_store_short v[12:13], v55, off
	v_cvt_f32_f16_e32 v18, v57
	v_fma_mix_f32 v19, -v45, v57, v44 op_sel_hi:[1,1,1]
	v_add_co_u32 v12, vcc_lo, s0, v22
	v_add_co_ci_u32_e64 v13, null, s1, v23, vcc_lo
	v_mul_f32_e64 v18, v46, -v18
	v_cmp_eq_u32_e32 vcc_lo, 20, v0
	global_load_ushort v60, v[12:13], off
	v_mul_f32_e32 v12, 0x3fb8aa3b, v42
	v_cndmask_b32_e32 v18, v18, v19, vcc_lo
	v_add_co_u32 v6, vcc_lo, s14, v6
	v_exp_f32_e32 v19, v12
	v_add_nc_u32_e32 v12, 0x4ee0c, v1
	v_cvt_f16_f32_e32 v42, v18
	v_add_co_ci_u32_e64 v7, null, s15, v7, vcc_lo
	v_ashrrev_i32_e32 v13, 31, v12
	global_store_short v[6:7], v42, off
	v_cvt_f16_f32_e32 v55, v19
	v_lshlrev_b64 v[18:19], 1, v[12:13]
	s_waitcnt vmcnt(14)
	v_cvt_f32_f16_e32 v13, v43
	v_cvt_f32_f16_e32 v12, v55
	v_fma_mix_f32 v42, -v45, v55, v44 op_sel_hi:[1,1,1]
	v_add_co_u32 v6, vcc_lo, s0, v18
	v_add_co_ci_u32_e64 v7, null, s1, v19, vcc_lo
	v_mul_f32_e64 v12, v46, -v12
	v_cmp_eq_u32_e32 vcc_lo, 21, v0
	global_load_ushort v57, v[6:7], off
	v_mul_f32_e32 v6, 0x3fb8aa3b, v13
	v_cndmask_b32_e32 v12, v12, v42, vcc_lo
	s_waitcnt vmcnt(14)
	v_cvt_f32_f16_e32 v42, v47
	v_exp_f32_e32 v13, v6
	v_add_co_u32 v6, vcc_lo, s14, v4
	v_add_nc_u32_e32 v4, 0x51028, v1
	v_add_co_ci_u32_e64 v7, null, s15, v5, vcc_lo
	v_cvt_f16_f32_e32 v12, v12
	v_mul_f32_e32 v42, 0x3fb8aa3b, v42
	v_ashrrev_i32_e32 v5, 31, v4
	v_cvt_f16_f32_e32 v13, v13
	global_store_short v[6:7], v12, off
	v_exp_f32_e32 v42, v42
	v_lshlrev_b64 v[4:5], 1, v[4:5]
	v_cvt_f32_f16_e32 v12, v13
	v_fma_mix_f32 v13, -v45, v13, v44 op_sel_hi:[1,1,1]
	v_add_co_u32 v6, vcc_lo, s0, v4
	v_add_co_ci_u32_e64 v7, null, s1, v5, vcc_lo
	v_mul_f32_e64 v12, v46, -v12
	v_cmp_eq_u32_e32 vcc_lo, 22, v0
	global_load_ushort v55, v[6:7], off
	v_cndmask_b32_e32 v6, v12, v13, vcc_lo
	v_add_co_u32 v2, vcc_lo, s14, v2
	v_add_co_ci_u32_e64 v3, null, s15, v3, vcc_lo
	v_cvt_f16_f32_e32 v7, v6
	v_cvt_f16_f32_e32 v12, v42
	v_add_nc_u32_e32 v6, 0x53244, v1
	global_store_short v[2:3], v7, off
	v_cvt_f32_f16_e32 v2, v12
	s_waitcnt vmcnt(14)
	v_cvt_f32_f16_e32 v3, v48
	v_ashrrev_i32_e32 v7, 31, v6
	v_fma_mix_f32 v12, -v45, v12, v44 op_sel_hi:[1,1,1]
	v_mul_f32_e64 v13, v46, -v2
	v_mul_f32_e32 v42, 0x3fb8aa3b, v3
	v_lshlrev_b64 v[2:3], 1, v[6:7]
	v_add_co_u32 v6, vcc_lo, s14, v8
	v_add_co_ci_u32_e64 v7, null, s15, v9, vcc_lo
	v_exp_f32_e32 v42, v42
	v_add_co_u32 v8, vcc_lo, s0, v2
	v_add_co_ci_u32_e64 v9, null, s1, v3, vcc_lo
	v_cmp_eq_u32_e32 vcc_lo, 23, v0
	global_load_ushort v43, v[8:9], off
	v_cndmask_b32_e32 v12, v13, v12, vcc_lo
	v_cvt_f16_f32_e32 v9, v42
	v_cmp_eq_u32_e32 vcc_lo, 24, v0
	s_waitcnt vmcnt(13)
	v_cvt_f32_f16_e32 v42, v50
	v_cvt_f16_f32_e32 v8, v12
	v_cvt_f32_f16_e32 v12, v49
	v_mul_f32_e32 v42, 0x3fb8aa3b, v42
	global_store_short v[6:7], v8, off
	v_cvt_f32_f16_e32 v7, v9
	v_add_nc_u32_e32 v6, 0x55460, v1
	v_mul_f32_e32 v8, 0x3fb8aa3b, v12
	v_fma_mix_f32 v9, -v45, v9, v44 op_sel_hi:[1,1,1]
	v_exp_f32_e32 v48, v42
	v_mul_f32_e64 v12, v46, -v7
	v_ashrrev_i32_e32 v7, 31, v6
	v_exp_f32_e32 v13, v8
	v_cndmask_b32_e32 v12, v12, v9, vcc_lo
	v_lshlrev_b64 v[8:9], 1, v[6:7]
	v_add_co_u32 v6, vcc_lo, s14, v10
	v_add_co_ci_u32_e64 v7, null, s15, v11, vcc_lo
	v_cvt_f16_f32_e32 v12, v12
	v_add_co_u32 v10, vcc_lo, s0, v8
	v_add_co_ci_u32_e64 v11, null, s1, v9, vcc_lo
	v_cvt_f16_f32_e32 v13, v13
	global_store_short v[6:7], v12, off
	s_waitcnt vmcnt(12)
	v_cvt_f32_f16_e32 v7, v51
	global_load_ushort v42, v[10:11], off
	v_add_nc_u32_e32 v6, 0x5767c, v1
	v_cvt_f32_f16_e32 v47, v13
	v_fma_mix_f32 v10, -v45, v13, v44 op_sel_hi:[1,1,1]
	v_cmp_eq_u32_e32 vcc_lo, 25, v0
	v_cvt_f16_f32_e32 v13, v48
	v_mul_f32_e64 v11, v46, -v47
	v_mul_f32_e32 v47, 0x3fb8aa3b, v7
	v_ashrrev_i32_e32 v7, 31, v6
	v_fma_mix_f32 v48, -v45, v13, v44 op_sel_hi:[1,1,1]
	v_cndmask_b32_e32 v12, v11, v10, vcc_lo
	v_add_co_u32 v10, vcc_lo, s14, v16
	v_lshlrev_b64 v[6:7], 1, v[6:7]
	v_cvt_f32_f16_e32 v16, v13
	v_exp_f32_e32 v47, v47
	v_add_co_ci_u32_e64 v11, null, s15, v17, vcc_lo
	v_cvt_f16_f32_e32 v17, v12
	v_add_co_u32 v12, vcc_lo, s0, v6
	v_mul_f32_e64 v16, v46, -v16
	v_add_co_ci_u32_e64 v13, null, s1, v7, vcc_lo
	v_cmp_eq_u32_e32 vcc_lo, 26, v0
	s_waitcnt vmcnt(12)
	v_cvt_f32_f16_e32 v49, v52
	global_store_short v[10:11], v17, off
	v_add_nc_u32_e32 v10, 0x59898, v1
	v_cndmask_b32_e32 v16, v16, v48, vcc_lo
	v_cvt_f16_f32_e32 v48, v47
	global_load_ushort v47, v[12:13], off
	v_mul_f32_e32 v49, 0x3fb8aa3b, v49
	v_add_co_u32 v12, vcc_lo, s14, v24
	v_cvt_f32_f16_e32 v24, v48
	v_add_co_ci_u32_e64 v13, null, s15, v25, vcc_lo
	v_cvt_f16_f32_e32 v16, v16
	v_exp_f32_e32 v25, v49
	v_fma_mix_f32 v11, -v45, v48, v44 op_sel_hi:[1,1,1]
	v_mul_f32_e64 v17, v46, -v24
	v_cmp_eq_u32_e32 vcc_lo, 27, v0
	global_store_short v[12:13], v16, off
	s_waitcnt vmcnt(12)
	v_cvt_f32_f16_e32 v12, v56
	v_cndmask_b32_e32 v16, v17, v11, vcc_lo
	v_ashrrev_i32_e32 v11, 31, v10
	v_cvt_f16_f32_e32 v17, v25
	v_mul_f32_e32 v24, 0x3fb8aa3b, v12
	v_add_co_u32 v12, vcc_lo, s14, v26
	v_lshlrev_b64 v[10:11], 1, v[10:11]
	v_cvt_f32_f16_e32 v25, v17
	v_exp_f32_e32 v24, v24
	v_add_co_ci_u32_e64 v13, null, s15, v27, vcc_lo
	v_cvt_f16_f32_e32 v26, v16
	v_add_co_u32 v16, vcc_lo, s0, v10
	v_fma_mix_f32 v27, -v45, v17, v44 op_sel_hi:[1,1,1]
	s_waitcnt vmcnt(11)
	v_cvt_f32_f16_e32 v48, v53
	v_add_co_ci_u32_e64 v17, null, s1, v11, vcc_lo
	v_mul_f32_e64 v25, v46, -v25
	v_cmp_eq_u32_e32 vcc_lo, 28, v0
	v_mul_f32_e32 v50, 0x3fb8aa3b, v48
	global_load_ushort v48, v[16:17], off
	v_add_nc_u32_e32 v16, 0x5bab4, v1
	v_cvt_f16_f32_e32 v49, v24
	v_cndmask_b32_e32 v27, v25, v27, vcc_lo
	v_add_co_u32 v24, vcc_lo, s14, v28
	v_ashrrev_i32_e32 v17, 31, v16
	v_add_co_ci_u32_e64 v25, null, s15, v29, vcc_lo
	v_cvt_f32_f16_e32 v28, v49
	v_cvt_f16_f32_e32 v27, v27
	v_exp_f32_e32 v29, v50
	global_store_short v[12:13], v26, off
	global_store_short v[24:25], v27, off
	v_lshlrev_b64 v[12:13], 1, v[16:17]
	v_fma_mix_f32 v49, -v45, v49, v44 op_sel_hi:[1,1,1]
	v_mul_f32_e64 v28, v46, -v28
	v_cmp_eq_u32_e32 vcc_lo, 29, v0
	s_waitcnt vmcnt(11)
	v_cvt_f32_f16_e32 v14, v14
	v_add_nc_u32_e32 v26, 0x5dcd0, v1
	v_cvt_f16_f32_e32 v27, v29
	v_cndmask_b32_e32 v28, v28, v49, vcc_lo
	v_add_co_u32 v16, vcc_lo, s0, v12
	v_add_co_ci_u32_e64 v17, null, s1, v13, vcc_lo
	v_cvt_f32_f16_e32 v29, v27
	v_mul_f32_e32 v14, 0x3fb8aa3b, v14
	v_add_co_u32 v24, vcc_lo, s14, v30
	global_load_ushort v50, v[16:17], off
	v_fma_mix_f32 v16, -v45, v27, v44 op_sel_hi:[1,1,1]
	v_ashrrev_i32_e32 v27, 31, v26
	v_add_co_ci_u32_e64 v25, null, s15, v31, vcc_lo
	v_mul_f32_e64 v17, v46, -v29
	v_cmp_eq_u32_e32 vcc_lo, 30, v0
	v_exp_f32_e32 v29, v14
	s_waitcnt vmcnt(11)
	v_cvt_f32_f16_e32 v31, v15
	v_lshlrev_b64 v[14:15], 1, v[26:27]
	v_cvt_f16_f32_e32 v28, v28
	v_cndmask_b32_e32 v30, v17, v16, vcc_lo
	v_add_co_u32 v16, vcc_lo, s14, v32
	v_add_co_ci_u32_e64 v17, null, s15, v33, vcc_lo
	v_add_co_u32 v26, vcc_lo, s0, v14
	v_add_co_ci_u32_e64 v27, null, s1, v15, vcc_lo
	v_cvt_f16_f32_e32 v30, v30
	v_cvt_f16_f32_e32 v29, v29
	v_mul_f32_e32 v31, 0x3fb8aa3b, v31
	global_load_ushort v49, v[26:27], off
	global_store_short v[24:25], v28, off
	global_store_short v[16:17], v30, off
	s_waitcnt vmcnt(11)
	v_cvt_f32_f16_e32 v17, v54
	v_add_nc_u32_e32 v16, 0x5feec, v1
	v_cvt_f32_f16_e32 v32, v29
	v_fma_mix_f32 v24, -v45, v29, v44 op_sel_hi:[1,1,1]
	v_cmp_eq_u32_e32 vcc_lo, 31, v0
	v_mul_f32_e32 v27, 0x3fb8aa3b, v17
	v_ashrrev_i32_e32 v17, 31, v16
	v_mul_f32_e64 v25, v46, -v32
	v_exp_f32_e32 v31, v31
	v_lshlrev_b64 v[16:17], 1, v[16:17]
	v_cndmask_b32_e32 v26, v25, v24, vcc_lo
	v_add_co_u32 v24, vcc_lo, s14, v34
	v_add_co_ci_u32_e64 v25, null, s15, v35, vcc_lo
	v_cvt_f16_f32_e32 v29, v26
	v_add_co_u32 v26, vcc_lo, s0, v16
	v_cvt_f16_f32_e32 v28, v31
	v_exp_f32_e32 v31, v27
	v_add_co_ci_u32_e64 v27, null, s1, v17, vcc_lo
	s_waitcnt vmcnt(10)
	v_cvt_f32_f16_e32 v32, v59
	v_cvt_f32_f16_e32 v30, v28
	v_fma_mix_f32 v28, -v45, v28, v44 op_sel_hi:[1,1,1]
	global_load_ushort v52, v[26:27], off
	v_cmp_eq_u32_e32 vcc_lo, 32, v0
	v_mul_f32_e32 v32, 0x3fb8aa3b, v32
	v_mul_f32_e64 v30, v46, -v30
	global_store_short v[24:25], v29, off
	v_exp_f32_e32 v26, v32
	v_cndmask_b32_e32 v27, v30, v28, vcc_lo
	v_cvt_f16_f32_e32 v28, v31
	v_add_co_u32 v24, vcc_lo, s14, v36
	s_waitcnt vmcnt(10)
	v_cvt_f32_f16_e32 v30, v58
	v_add_co_ci_u32_e64 v25, null, s15, v37, vcc_lo
	v_cvt_f32_f16_e32 v29, v28
	v_cvt_f16_f32_e32 v27, v27
	v_cvt_f16_f32_e32 v26, v26
	v_fma_mix_f32 v28, -v45, v28, v44 op_sel_hi:[1,1,1]
	v_mul_f32_e32 v30, 0x3fb8aa3b, v30
	v_mul_f32_e64 v29, v46, -v29
	v_cmp_eq_u32_e32 vcc_lo, 33, v0
	global_store_short v[24:25], v27, off
	v_cvt_f32_f16_e32 v24, v26
	v_exp_f32_e32 v27, v30
	v_fma_mix_f32 v26, -v45, v26, v44 op_sel_hi:[1,1,1]
	v_cndmask_b32_e32 v25, v29, v28, vcc_lo
	v_add_co_u32 v20, vcc_lo, s14, v20
	v_mul_f32_e64 v24, v46, -v24
	v_add_co_ci_u32_e64 v21, null, s15, v21, vcc_lo
	v_cmp_eq_u32_e32 vcc_lo, 34, v0
	v_cvt_f16_f32_e32 v28, v25
	v_cvt_f16_f32_e32 v27, v27
	v_cndmask_b32_e32 v29, v24, v26, vcc_lo
	s_waitcnt vmcnt(9)
	v_cvt_f32_f16_e32 v26, v60
	v_cvt_f32_f16_e32 v30, v27
	v_add_co_u32 v24, vcc_lo, s14, v38
	v_fma_mix_f32 v32, -v45, v27, v44 op_sel_hi:[1,1,1]
	v_mul_f32_e32 v31, 0x3fb8aa3b, v26
	v_add_nc_u32_e32 v26, 0x62108, v1
	v_add_co_ci_u32_e64 v25, null, s15, v39, vcc_lo
	v_cvt_f16_f32_e32 v29, v29
	v_mul_f32_e64 v30, v46, -v30
	v_ashrrev_i32_e32 v27, 31, v26
	v_cmp_eq_u32_e32 vcc_lo, 35, v0
	v_exp_f32_e32 v31, v31
	global_store_short v[20:21], v28, off
	global_store_short v[24:25], v29, off
	v_add_nc_u32_e32 v24, 0x64324, v1
	v_lshlrev_b64 v[20:21], 1, v[26:27]
	v_cndmask_b32_e32 v25, v30, v32, vcc_lo
	v_add_co_u32 v28, vcc_lo, s14, v40
	v_add_co_ci_u32_e64 v29, null, s15, v41, vcc_lo
	v_add_co_u32 v26, vcc_lo, s0, v20
	v_add_co_ci_u32_e64 v27, null, s1, v21, vcc_lo
	v_cvt_f16_f32_e32 v36, v25
	v_ashrrev_i32_e32 v25, 31, v24
	v_cvt_f16_f32_e32 v31, v31
	v_add_nc_u32_e32 v30, 0x66540, v1
	global_load_ushort v51, v[26:27], off
	s_waitcnt vmcnt(9)
	v_cvt_f32_f16_e32 v33, v57
	v_lshlrev_b64 v[26:27], 1, v[24:25]
	v_cvt_f32_f16_e32 v32, v31
	v_fma_mix_f32 v34, -v45, v31, v44 op_sel_hi:[1,1,1]
	v_ashrrev_i32_e32 v31, 31, v30
	v_mul_f32_e32 v37, 0x3fb8aa3b, v33
	global_store_short v[28:29], v36, off
	v_mul_f32_e64 v35, v46, -v32
	v_add_co_u32 v32, vcc_lo, s0, v26
	v_lshlrev_b64 v[24:25], 1, v[30:31]
	v_add_co_ci_u32_e64 v33, null, s1, v27, vcc_lo
	v_cmp_eq_u32_e32 vcc_lo, 36, v0
	v_exp_f32_e32 v37, v37
	v_add_nc_u32_e32 v28, 0x6a978, v1
	global_load_ushort v53, v[32:33], off
	v_cndmask_b32_e32 v38, v35, v34, vcc_lo
	v_add_co_u32 v30, vcc_lo, s0, v24
	v_add_co_ci_u32_e64 v31, null, s1, v25, vcc_lo
	v_add_co_u32 v34, vcc_lo, s14, v22
	v_cvt_f16_f32_e32 v37, v37
	global_load_ushort v54, v[30:31], off
	v_add_nc_u32_e32 v32, 0x6875c, v1
	v_add_co_ci_u32_e64 v35, null, s15, v23, vcc_lo
	v_ashrrev_i32_e32 v29, 31, v28
	v_cvt_f16_f32_e32 v38, v38
	v_ashrrev_i32_e32 v33, 31, v32
	v_lshlrev_b64 v[28:29], 1, v[28:29]
	global_store_short v[34:35], v38, off
	v_lshlrev_b64 v[22:23], 1, v[32:33]
	v_cvt_f32_f16_e32 v32, v37
	s_waitcnt vmcnt(10)
	v_cvt_f32_f16_e32 v33, v55
	v_fma_mix_f32 v34, -v45, v37, v44 op_sel_hi:[1,1,1]
	v_add_co_u32 v30, vcc_lo, s0, v22
	v_add_co_ci_u32_e64 v31, null, s1, v23, vcc_lo
	v_mul_f32_e64 v32, v46, -v32
	v_cmp_eq_u32_e32 vcc_lo, 37, v0
	v_mul_f32_e32 v33, 0x3fb8aa3b, v33
	global_load_ushort v55, v[30:31], off
	v_cndmask_b32_e32 v34, v32, v34, vcc_lo
	v_add_co_u32 v32, vcc_lo, s0, v28
	v_exp_f32_e32 v35, v33
	v_add_co_ci_u32_e64 v33, null, s1, v29, vcc_lo
	v_add_co_u32 v18, vcc_lo, s14, v18
	v_add_co_ci_u32_e64 v19, null, s15, v19, vcc_lo
	global_load_ushort v56, v[32:33], off
	v_add_nc_u32_e32 v30, 0x6cb94, v1
	v_add_nc_u32_e32 v32, 0x6edb0, v1
	v_cvt_f16_f32_e32 v36, v34
	v_cvt_f16_f32_e32 v38, v35
	s_waitcnt vmcnt(11)
	v_cvt_f32_f16_e32 v39, v43
	v_ashrrev_i32_e32 v31, 31, v30
	v_ashrrev_i32_e32 v33, 31, v32
	global_store_short v[18:19], v36, off
	v_cvt_f32_f16_e32 v19, v38
	v_add_nc_u32_e32 v18, 0x70fcc, v1
	v_lshlrev_b64 v[30:31], 1, v[30:31]
	v_lshlrev_b64 v[36:37], 1, v[32:33]
	v_fma_mix_f32 v38, -v45, v38, v44 op_sel_hi:[1,1,1]
	v_mul_f32_e64 v40, v46, -v19
	v_ashrrev_i32_e32 v19, 31, v18
	v_mul_f32_e32 v39, 0x3fb8aa3b, v39
	v_add_co_u32 v34, vcc_lo, s0, v30
	v_add_co_ci_u32_e64 v35, null, s1, v31, vcc_lo
	v_add_co_u32 v32, vcc_lo, s0, v36
	v_add_co_ci_u32_e64 v33, null, s1, v37, vcc_lo
	global_load_ushort v57, v[34:35], off
	v_cmp_eq_u32_e32 vcc_lo, 38, v0
	v_exp_f32_e32 v39, v39
	global_load_ushort v58, v[32:33], off
	v_lshlrev_b64 v[34:35], 1, v[18:19]
	v_cndmask_b32_e32 v38, v40, v38, vcc_lo
	v_add_co_u32 v18, vcc_lo, s0, v34
	v_add_co_ci_u32_e64 v19, null, s1, v35, vcc_lo
	v_add_co_u32 v4, vcc_lo, s14, v4
	v_add_co_ci_u32_e64 v5, null, s15, v5, vcc_lo
	global_load_ushort v59, v[18:19], off
	v_add_nc_u32_e32 v32, 0x731e8, v1
	v_cvt_f16_f32_e32 v38, v38
	v_cvt_f16_f32_e32 v39, v39
	v_ashrrev_i32_e32 v33, 31, v32
	global_store_short v[4:5], v38, off
	v_lshlrev_b64 v[40:41], 1, v[32:33]
	s_waitcnt vmcnt(13)
	v_cvt_f32_f16_e32 v33, v42
	v_cvt_f32_f16_e32 v32, v39
	v_add_co_u32 v4, vcc_lo, s0, v40
	v_add_co_ci_u32_e64 v5, null, s1, v41, vcc_lo
	global_load_ushort v61, v[4:5], off
	v_add_nc_u32_e32 v18, 0x75404, v1
	v_ashrrev_i32_e32 v19, 31, v18
	v_lshlrev_b64 v[42:43], 1, v[18:19]
	v_mul_f32_e64 v19, v46, -v32
	v_mul_f32_e32 v32, 0x3fb8aa3b, v33
	v_fma_mix_f32 v18, -v45, v39, v44 op_sel_hi:[1,1,1]
	v_add_co_u32 v4, vcc_lo, s0, v42
	v_add_co_ci_u32_e64 v5, null, s1, v43, vcc_lo
	v_cmp_eq_u32_e32 vcc_lo, 39, v0
	v_exp_f32_e32 v32, v32
	global_load_ushort v62, v[4:5], off
	v_add_nc_u32_e32 v4, 0x77620, v1
	v_cndmask_b32_e32 v18, v19, v18, vcc_lo
	v_add_co_u32 v2, vcc_lo, s14, v2
	v_add_co_ci_u32_e64 v3, null, s15, v3, vcc_lo
	v_cvt_f16_f32_e32 v5, v18
	v_cvt_f16_f32_e32 v18, v32
	global_store_short v[2:3], v5, off
	v_ashrrev_i32_e32 v5, 31, v4
	v_cvt_f32_f16_e32 v2, v18
	s_waitcnt vmcnt(14)
	v_cvt_f32_f16_e32 v3, v47
	v_fma_mix_f32 v18, -v45, v18, v44 op_sel_hi:[1,1,1]
	v_lshlrev_b64 v[38:39], 1, v[4:5]
	v_mul_f32_e64 v19, v46, -v2
	v_mul_f32_e32 v32, 0x3fb8aa3b, v3
	v_add_co_u32 v2, vcc_lo, s14, v8
	v_add_co_ci_u32_e64 v3, null, s15, v9, vcc_lo
	v_add_co_u32 v4, vcc_lo, s0, v38
	v_add_co_ci_u32_e64 v5, null, s1, v39, vcc_lo
	v_exp_f32_e32 v8, v32
	v_cmp_eq_u32_e32 vcc_lo, 40, v0
	global_load_ushort v64, v[4:5], off
	v_add_nc_u32_e32 v4, 0x7983c, v1
	v_cndmask_b32_e32 v9, v19, v18, vcc_lo
	v_ashrrev_i32_e32 v5, 31, v4
	v_cvt_f16_f32_e32 v8, v8
	v_cvt_f16_f32_e32 v9, v9
	v_lshlrev_b64 v[32:33], 1, v[4:5]
	v_fma_mix_f32 v4, -v45, v8, v44 op_sel_hi:[1,1,1]
	global_store_short v[2:3], v9, off
	v_cvt_f32_f16_e32 v2, v8
	v_mul_f32_e64 v5, v46, -v2
	v_add_co_u32 v2, vcc_lo, s0, v32
	v_add_co_ci_u32_e64 v3, null, s1, v33, vcc_lo
	v_cmp_eq_u32_e32 vcc_lo, 41, v0
	global_load_ushort v63, v[2:3], off
	v_cndmask_b32_e32 v8, v5, v4, vcc_lo
	s_waitcnt vmcnt(15)
	v_cvt_f32_f16_e32 v4, v48
	v_add_co_u32 v2, vcc_lo, s14, v6
	v_add_co_ci_u32_e64 v3, null, s15, v7, vcc_lo
	v_mul_f32_e32 v5, 0x3fb8aa3b, v4
	v_add_nc_u32_e32 v4, 0x7ba58, v1
	v_cvt_f16_f32_e32 v7, v8
	v_exp_f32_e32 v6, v5
	v_ashrrev_i32_e32 v5, 31, v4
	global_store_short v[2:3], v7, off
	v_lshlrev_b64 v[18:19], 1, v[4:5]
	v_cvt_f16_f32_e32 v4, v6
	s_waitcnt vmcnt(14)
	v_cvt_f32_f16_e32 v6, v50
	v_add_co_u32 v2, vcc_lo, s0, v18
	v_add_co_ci_u32_e64 v3, null, s1, v19, vcc_lo
	v_cvt_f32_f16_e32 v5, v4
	v_fma_mix_f32 v4, -v45, v4, v44 op_sel_hi:[1,1,1]
	v_cmp_eq_u32_e32 vcc_lo, 42, v0
	global_load_ushort v60, v[2:3], off
	v_mul_f32_e32 v3, 0x3fb8aa3b, v6
	v_mul_f32_e64 v2, v46, -v5
	v_exp_f32_e32 v7, v3
	v_cndmask_b32_e32 v6, v2, v4, vcc_lo
	v_add_nc_u32_e32 v4, 0x7dc74, v1
	v_add_co_u32 v2, vcc_lo, s14, v10
	s_waitcnt vmcnt(14)
	v_cvt_f32_f16_e32 v10, v49
	v_add_co_ci_u32_e64 v3, null, s15, v11, vcc_lo
	v_ashrrev_i32_e32 v5, 31, v4
	v_cvt_f16_f32_e32 v6, v6
	v_cvt_f16_f32_e32 v7, v7
	v_lshlrev_b64 v[8:9], 1, v[4:5]
	v_mul_f32_e32 v5, 0x3fb8aa3b, v10
	v_cvt_f32_f16_e32 v4, v7
	global_store_short v[2:3], v6, off
	v_fma_mix_f32 v6, -v45, v7, v44 op_sel_hi:[1,1,1]
	v_add_co_u32 v2, vcc_lo, s0, v8
	v_add_co_ci_u32_e64 v3, null, s1, v9, vcc_lo
	v_mul_f32_e64 v4, v46, -v4
	v_exp_f32_e32 v5, v5
	v_cmp_eq_u32_e32 vcc_lo, 43, v0
	global_load_ushort v50, v[2:3], off
	v_cndmask_b32_e32 v4, v4, v6, vcc_lo
	v_add_co_u32 v2, vcc_lo, s14, v12
	v_add_co_ci_u32_e64 v3, null, s15, v13, vcc_lo
	v_cvt_f16_f32_e32 v4, v4
	v_cvt_f16_f32_e32 v5, v5
	v_cmp_eq_u32_e32 vcc_lo, 44, v0
	global_store_short v[2:3], v4, off
	v_cvt_f32_f16_e32 v3, v5
	v_add_nc_u32_e32 v2, 0x7fe90, v1
	v_fma_mix_f32 v5, -v45, v5, v44 op_sel_hi:[1,1,1]
	s_waitcnt vmcnt(14)
	v_cvt_f32_f16_e32 v4, v52
	v_mul_f32_e64 v6, v46, -v3
	v_ashrrev_i32_e32 v3, 31, v2
	v_mul_f32_e32 v4, 0x3fb8aa3b, v4
	v_cndmask_b32_e32 v10, v6, v5, vcc_lo
	v_lshlrev_b64 v[6:7], 1, v[2:3]
	v_add_co_u32 v2, vcc_lo, s14, v14
	v_exp_f32_e32 v11, v4
	v_add_co_ci_u32_e64 v3, null, s15, v15, vcc_lo
	v_add_co_u32 v4, vcc_lo, s0, v6
	v_add_co_ci_u32_e64 v5, null, s1, v7, vcc_lo
	v_cvt_f16_f32_e32 v10, v10
	global_load_ushort v49, v[4:5], off
	v_add_nc_u32_e32 v4, 0x820ac, v1
	v_cvt_f16_f32_e32 v11, v11
	global_store_short v[2:3], v10, off
	v_add_co_u32 v10, vcc_lo, s14, v16
	v_ashrrev_i32_e32 v5, 31, v4
	v_cvt_f32_f16_e32 v2, v11
	v_fma_mix_f32 v12, -v45, v11, v44 op_sel_hi:[1,1,1]
	v_add_co_ci_u32_e64 v11, null, s15, v17, vcc_lo
	v_lshlrev_b64 v[4:5], 1, v[4:5]
	v_mul_f32_e64 v13, v46, -v2
	v_add_co_u32 v2, vcc_lo, s0, v4
	v_add_co_ci_u32_e64 v3, null, s1, v5, vcc_lo
	v_cmp_eq_u32_e32 vcc_lo, 45, v0
	global_load_ushort v47, v[2:3], off
	v_add_nc_u32_e32 v2, 0x842c8, v1
	v_cndmask_b32_e32 v12, v13, v12, vcc_lo
	v_ashrrev_i32_e32 v3, 31, v2
	v_cvt_f16_f32_e32 v12, v12
	s_waitcnt vmcnt(13)
	v_cvt_f32_f16_e32 v13, v54
	v_lshlrev_b64 v[2:3], 1, v[2:3]
	global_store_short v[10:11], v12, off
	v_cvt_f32_f16_e32 v12, v51
	v_mul_f32_e32 v13, 0x3fb8aa3b, v13
	v_add_co_u32 v10, vcc_lo, s0, v2
	v_add_co_ci_u32_e64 v11, null, s1, v3, vcc_lo
	v_mul_f32_e32 v12, 0x3fb8aa3b, v12
	v_cmp_eq_u32_e32 vcc_lo, 46, v0
	v_exp_f32_e32 v13, v13
	global_load_ushort v48, v[10:11], off
	v_cvt_f32_f16_e32 v11, v53
	v_exp_f32_e32 v10, v12
	v_mul_f32_e32 v11, 0x3fb8aa3b, v11
	s_waitcnt vmcnt(13)
	v_cvt_f32_f16_e32 v16, v55
	v_cvt_f16_f32_e32 v13, v13
	v_exp_f32_e32 v11, v11
	v_cvt_f16_f32_e32 v10, v10
	v_mul_f32_e32 v16, 0x3fb8aa3b, v16
	v_cvt_f32_f16_e32 v12, v10
	v_fma_mix_f32 v10, -v45, v10, v44 op_sel_hi:[1,1,1]
	v_cvt_f16_f32_e32 v14, v11
	v_mul_f32_e64 v12, v46, -v12
	v_cvt_f32_f16_e32 v15, v14
	v_cndmask_b32_e32 v12, v12, v10, vcc_lo
	v_add_co_u32 v10, vcc_lo, s14, v20
	v_add_co_ci_u32_e64 v11, null, s15, v21, vcc_lo
	v_cvt_f16_f32_e32 v12, v12
	v_fma_mix_f32 v14, -v45, v14, v44 op_sel_hi:[1,1,1]
	v_mul_f32_e64 v15, v46, -v15
	v_cmp_eq_u32_e32 vcc_lo, 47, v0
	global_store_short v[10:11], v12, off
	v_cndmask_b32_e32 v12, v15, v14, vcc_lo
	v_exp_f32_e32 v14, v16
	v_cvt_f32_f16_e32 v15, v13
	s_waitcnt vmcnt(12)
	v_cvt_f32_f16_e32 v16, v56
	v_add_co_u32 v10, vcc_lo, s14, v26
	v_add_co_ci_u32_e64 v11, null, s15, v27, vcc_lo
	v_cvt_f16_f32_e32 v12, v12
	v_fma_mix_f32 v13, -v45, v13, v44 op_sel_hi:[1,1,1]
	v_mul_f32_e64 v15, v46, -v15
	v_cvt_f16_f32_e32 v14, v14
	v_mul_f32_e32 v16, 0x3fb8aa3b, v16
	v_cmp_eq_u32_e32 vcc_lo, 48, v0
	global_store_short v[10:11], v12, off
	v_cndmask_b32_e32 v12, v15, v13, vcc_lo
	v_cvt_f32_f16_e32 v13, v14
	v_exp_f32_e32 v15, v16
	s_waitcnt vmcnt(11)
	v_cvt_f32_f16_e32 v16, v57
	v_add_co_u32 v10, vcc_lo, s14, v24
	v_add_co_ci_u32_e64 v11, null, s15, v25, vcc_lo
	v_cvt_f16_f32_e32 v12, v12
	v_fma_mix_f32 v14, -v45, v14, v44 op_sel_hi:[1,1,1]
	v_mul_f32_e64 v13, v46, -v13
	v_mul_f32_e32 v16, 0x3fb8aa3b, v16
	v_cmp_eq_u32_e32 vcc_lo, 49, v0
	v_cvt_f16_f32_e32 v15, v15
	global_store_short v[10:11], v12, off
	v_cndmask_b32_e32 v12, v13, v14, vcc_lo
	v_exp_f32_e32 v13, v16
	v_cvt_f32_f16_e32 v14, v15
	s_waitcnt vmcnt(10)
	v_cvt_f32_f16_e32 v16, v58
	v_add_co_u32 v10, vcc_lo, s14, v22
	v_add_co_ci_u32_e64 v11, null, s15, v23, vcc_lo
	v_cvt_f16_f32_e32 v12, v12
	v_fma_mix_f32 v15, -v45, v15, v44 op_sel_hi:[1,1,1]
	v_mul_f32_e64 v14, v46, -v14
	v_cvt_f16_f32_e32 v13, v13
	v_mul_f32_e32 v16, 0x3fb8aa3b, v16
	v_cmp_eq_u32_e32 vcc_lo, 50, v0
	global_store_short v[10:11], v12, off
	v_cndmask_b32_e32 v12, v14, v15, vcc_lo
	v_cvt_f32_f16_e32 v14, v13
	v_exp_f32_e32 v15, v16
	s_waitcnt vmcnt(9)
	v_cvt_f32_f16_e32 v16, v59
	v_add_co_u32 v10, vcc_lo, s14, v28
	v_add_co_ci_u32_e64 v11, null, s15, v29, vcc_lo
	v_cvt_f16_f32_e32 v12, v12
	v_fma_mix_f32 v13, -v45, v13, v44 op_sel_hi:[1,1,1]
	v_mul_f32_e64 v14, v46, -v14
	v_mul_f32_e32 v16, 0x3fb8aa3b, v16
	v_cmp_eq_u32_e32 vcc_lo, 51, v0
	global_store_short v[10:11], v12, off
	v_cvt_f16_f32_e32 v15, v15
	v_cndmask_b32_e32 v12, v14, v13, vcc_lo
	v_exp_f32_e32 v13, v16
	s_waitcnt vmcnt(8)
	v_cvt_f32_f16_e32 v16, v61
	v_cvt_f32_f16_e32 v14, v15
	v_add_co_u32 v10, vcc_lo, s14, v30
	v_cvt_f16_f32_e32 v17, v12
	v_fma_mix_f32 v12, -v45, v15, v44 op_sel_hi:[1,1,1]
	v_add_co_ci_u32_e64 v11, null, s15, v31, vcc_lo
	v_mul_f32_e64 v14, v46, -v14
	v_cvt_f16_f32_e32 v15, v13
	v_mul_f32_e32 v13, 0x3fb8aa3b, v16
	s_waitcnt vmcnt(7)
	v_cvt_f32_f16_e32 v16, v62
	v_cmp_eq_u32_e32 vcc_lo, 52, v0
	v_cvt_f32_f16_e32 v20, v15
	v_exp_f32_e32 v21, v13
	v_mul_f32_e32 v16, 0x3fb8aa3b, v16
	v_cndmask_b32_e32 v14, v14, v12, vcc_lo
	v_add_co_u32 v12, vcc_lo, s14, v36
	v_add_co_ci_u32_e64 v13, null, s15, v37, vcc_lo
	v_exp_f32_e32 v16, v16
	v_fma_mix_f32 v15, -v45, v15, v44 op_sel_hi:[1,1,1]
	v_mul_f32_e64 v20, v46, -v20
	v_cvt_f16_f32_e32 v21, v21
	v_cmp_eq_u32_e32 vcc_lo, 53, v0
	v_cvt_f16_f32_e32 v14, v14
	global_store_short v[10:11], v17, off
	global_store_short v[12:13], v14, off
	v_cndmask_b32_e32 v12, v20, v15, vcc_lo
	v_cvt_f32_f16_e32 v13, v21
	v_cvt_f16_f32_e32 v14, v16
	v_add_co_u32 v10, vcc_lo, s14, v34
	v_add_co_ci_u32_e64 v11, null, s15, v35, vcc_lo
	v_fma_mix_f32 v15, -v45, v21, v44 op_sel_hi:[1,1,1]
	v_mul_f32_e64 v13, v46, -v13
	v_cvt_f16_f32_e32 v17, v12
	v_cvt_f32_f16_e32 v12, v14
	v_cmp_eq_u32_e32 vcc_lo, 54, v0
	s_waitcnt vmcnt(6)
	v_cvt_f32_f16_e32 v16, v64
	v_fma_mix_f32 v14, -v45, v14, v44 op_sel_hi:[1,1,1]
	v_mul_f32_e64 v20, v46, -v12
	v_cndmask_b32_e32 v15, v13, v15, vcc_lo
	v_add_co_u32 v12, vcc_lo, s14, v40
	v_mul_f32_e32 v16, 0x3fb8aa3b, v16
	v_add_co_ci_u32_e64 v13, null, s15, v41, vcc_lo
	v_cmp_eq_u32_e32 vcc_lo, 55, v0
	v_cvt_f16_f32_e32 v22, v15
	v_exp_f32_e32 v21, v16
	v_add_nc_u32_e32 v16, 0x864e4, v1
	global_store_short v[10:11], v17, off
	global_store_short v[12:13], v22, off
	v_cndmask_b32_e32 v20, v20, v14, vcc_lo
	v_add_co_u32 v14, vcc_lo, s14, v42
	v_add_co_ci_u32_e64 v15, null, s15, v43, vcc_lo
	v_cvt_f16_f32_e32 v20, v20
	v_cvt_f16_f32_e32 v21, v21
	v_ashrrev_i32_e32 v17, 31, v16
	v_add_nc_u32_e32 v10, 0x88700, v1
	global_store_short v[14:15], v20, off
	s_waitcnt vmcnt(5)
	v_cvt_f32_f16_e32 v14, v63
	v_cvt_f32_f16_e32 v11, v21
	v_lshlrev_b64 v[12:13], 1, v[16:17]
	v_fma_mix_f32 v16, -v45, v21, v44 op_sel_hi:[1,1,1]
	v_mul_f32_e32 v20, 0x3fb8aa3b, v14
	v_mul_f32_e64 v17, v46, -v11
	v_ashrrev_i32_e32 v11, 31, v10
	v_add_co_u32 v14, vcc_lo, s0, v12
	v_exp_f32_e32 v20, v20
	v_add_co_ci_u32_e64 v15, null, s1, v13, vcc_lo
	v_cmp_eq_u32_e32 vcc_lo, 56, v0
	v_lshlrev_b64 v[10:11], 1, v[10:11]
	global_load_ushort v36, v[14:15], off
	v_cndmask_b32_e32 v21, v17, v16, vcc_lo
	v_add_nc_u32_e32 v16, 0x8a91c, v1
	v_cvt_f16_f32_e32 v24, v20
	v_add_nc_u32_e32 v20, 0x8cb38, v1
	v_add_co_u32 v14, vcc_lo, s0, v10
	v_add_co_ci_u32_e64 v15, null, s1, v11, vcc_lo
	v_ashrrev_i32_e32 v17, 31, v16
	v_cvt_f16_f32_e32 v34, v21
	v_ashrrev_i32_e32 v21, 31, v20
	global_load_ushort v37, v[14:15], off
	s_waitcnt vmcnt(6)
	v_cvt_f32_f16_e32 v22, v60
	v_lshlrev_b64 v[14:15], 1, v[16:17]
	v_add_co_u32 v26, vcc_lo, s14, v38
	v_lshlrev_b64 v[16:17], 1, v[20:21]
	v_add_co_ci_u32_e64 v27, null, s15, v39, vcc_lo
	v_mul_f32_e32 v28, 0x3fb8aa3b, v22
	v_add_co_u32 v22, vcc_lo, s0, v14
	v_cvt_f32_f16_e32 v25, v24
	v_add_co_ci_u32_e64 v23, null, s1, v15, vcc_lo
	v_add_co_u32 v20, vcc_lo, s0, v16
	v_add_co_ci_u32_e64 v21, null, s1, v17, vcc_lo
	v_fma_mix_f32 v24, -v45, v24, v44 op_sel_hi:[1,1,1]
	v_exp_f32_e32 v28, v28
	v_mul_f32_e64 v25, v46, -v25
	v_cmp_eq_u32_e32 vcc_lo, 57, v0
	s_clause 0x1
	global_load_ushort v38, v[22:23], off
	global_load_ushort v39, v[20:21], off
	v_add_nc_u32_e32 v22, 0x8ed54, v1
	s_waitcnt vmcnt(7)
	v_cvt_f32_f16_e32 v41, v50
	v_cndmask_b32_e32 v24, v25, v24, vcc_lo
	v_ashrrev_i32_e32 v23, 31, v22
	v_cvt_f16_f32_e32 v25, v28
	v_cvt_f16_f32_e32 v35, v24
	v_add_nc_u32_e32 v24, 0x90f70, v1
	v_add_co_u32 v28, vcc_lo, s14, v32
	v_lshlrev_b64 v[20:21], 1, v[22:23]
	v_add_co_ci_u32_e64 v29, null, s15, v33, vcc_lo
	v_cvt_f32_f16_e32 v33, v25
	v_fma_mix_f32 v40, -v45, v25, v44 op_sel_hi:[1,1,1]
	v_ashrrev_i32_e32 v25, 31, v24
	v_add_co_u32 v30, vcc_lo, s0, v20
	v_add_nc_u32_e32 v32, 0x9318c, v1
	v_add_co_ci_u32_e64 v31, null, s1, v21, vcc_lo
	v_lshlrev_b64 v[22:23], 1, v[24:25]
	v_mul_f32_e64 v42, v46, -v33
	v_mul_f32_e32 v43, 0x3fb8aa3b, v41
	v_ashrrev_i32_e32 v33, 31, v32
	global_load_ushort v41, v[30:31], off
	v_add_co_u32 v30, vcc_lo, s0, v22
	v_add_co_ci_u32_e64 v31, null, s1, v23, vcc_lo
	v_cmp_eq_u32_e32 vcc_lo, 58, v0
	v_lshlrev_b64 v[24:25], 1, v[32:33]
	v_exp_f32_e32 v33, v43
	v_cndmask_b32_e32 v32, v42, v40, vcc_lo
	global_load_ushort v40, v[30:31], off
	v_add_co_u32 v30, vcc_lo, s0, v24
	v_add_co_ci_u32_e64 v31, null, s1, v25, vcc_lo
	v_add_co_u32 v18, vcc_lo, s14, v18
	v_cvt_f16_f32_e32 v43, v32
	v_add_nc_u32_e32 v32, 0x953a8, v1
	v_add_co_ci_u32_e64 v19, null, s15, v19, vcc_lo
	v_cvt_f16_f32_e32 v50, v33
	global_load_ushort v42, v[30:31], off
	v_ashrrev_i32_e32 v33, 31, v32
	global_store_short v[26:27], v34, off
	global_store_short v[28:29], v35, off
	;; [unrolled: 1-line block ×3, first 2 shown]
	v_cvt_f32_f16_e32 v19, v50
	v_add_nc_u32_e32 v18, 0x975c4, v1
	v_lshlrev_b64 v[26:27], 1, v[32:33]
	s_waitcnt vmcnt(9)
	v_cvt_f32_f16_e32 v28, v49
	v_fma_mix_f32 v30, -v45, v50, v44 op_sel_hi:[1,1,1]
	v_mul_f32_e64 v31, v46, -v19
	v_ashrrev_i32_e32 v19, 31, v18
	s_waitcnt vmcnt(8)
	v_cvt_f32_f16_e32 v50, v47
	v_mul_f32_e32 v32, 0x3fb8aa3b, v28
	v_add_co_u32 v28, vcc_lo, s0, v26
	v_lshlrev_b64 v[18:19], 1, v[18:19]
	v_add_co_ci_u32_e64 v29, null, s1, v27, vcc_lo
	v_cmp_eq_u32_e32 vcc_lo, 59, v0
	v_exp_f32_e32 v35, v32
	global_load_ushort v43, v[28:29], off
	v_cndmask_b32_e32 v34, v31, v30, vcc_lo
	v_add_co_u32 v30, vcc_lo, s0, v18
	v_add_co_ci_u32_e64 v31, null, s1, v19, vcc_lo
	v_add_co_u32 v32, vcc_lo, s14, v8
	v_add_co_ci_u32_e64 v33, null, s15, v9, vcc_lo
	global_load_ushort v49, v[30:31], off
	v_add_nc_u32_e32 v28, 0x997e0, v1
	v_cvt_f16_f32_e32 v34, v34
	s_waitcnt vmcnt(9)
	v_cvt_f32_f16_e32 v48, v48
	v_ashrrev_i32_e32 v29, 31, v28
	global_store_short v[32:33], v34, off
	v_add_nc_u32_e32 v32, 0x9dc18, v1
	v_mul_f32_e32 v52, 0x3fb8aa3b, v48
	v_lshlrev_b64 v[8:9], 1, v[28:29]
	v_cvt_f16_f32_e32 v29, v35
	v_add_nc_u32_e32 v28, 0x9b9fc, v1
	v_ashrrev_i32_e32 v33, 31, v32
	v_exp_f32_e32 v52, v52
	v_add_co_u32 v30, vcc_lo, s0, v8
	v_cvt_f32_f16_e32 v35, v29
	v_fma_mix_f32 v51, -v45, v29, v44 op_sel_hi:[1,1,1]
	v_ashrrev_i32_e32 v29, 31, v28
	v_add_co_ci_u32_e64 v31, null, s1, v9, vcc_lo
	v_cmp_eq_u32_e32 vcc_lo, 60, v0
	v_cvt_f16_f32_e32 v52, v52
	v_lshlrev_b64 v[28:29], 1, v[28:29]
	global_load_ushort v47, v[30:31], off
	v_mul_f32_e64 v30, v46, -v35
	v_mul_f32_e32 v31, 0x3fb8aa3b, v50
	v_cvt_f32_f16_e32 v54, v52
	v_fma_mix_f32 v56, -v45, v52, v44 op_sel_hi:[1,1,1]
	v_cndmask_b32_e32 v50, v30, v51, vcc_lo
	v_add_co_u32 v30, vcc_lo, s0, v28
	v_exp_f32_e32 v51, v31
	v_add_co_ci_u32_e64 v31, null, s1, v29, vcc_lo
	v_add_co_u32 v34, vcc_lo, s14, v6
	v_add_co_ci_u32_e64 v35, null, s15, v7, vcc_lo
	v_lshlrev_b64 v[6:7], 1, v[32:33]
	v_cvt_f16_f32_e32 v50, v50
	global_load_ushort v48, v[30:31], off
	v_cvt_f16_f32_e32 v51, v51
	v_mul_f32_e64 v54, v46, -v54
	v_add_co_u32 v32, vcc_lo, s0, v6
	v_add_co_ci_u32_e64 v33, null, s1, v7, vcc_lo
	global_store_short v[34:35], v50, off
	v_cvt_f32_f16_e32 v53, v51
	v_fma_mix_f32 v35, -v45, v51, v44 op_sel_hi:[1,1,1]
	global_load_ushort v50, v[32:33], off
	v_add_nc_u32_e32 v30, 0x9fe34, v1
	v_add_nc_u32_e32 v34, 0xa2050, v1
	v_mul_f32_e64 v51, v46, -v53
	v_ashrrev_i32_e32 v31, 31, v30
	v_lshlrev_b64 v[30:31], 1, v[30:31]
	v_add_co_u32 v32, vcc_lo, s0, v30
	v_add_co_ci_u32_e64 v33, null, s1, v31, vcc_lo
	v_cmp_eq_u32_e32 vcc_lo, 61, v0
	v_cndmask_b32_e32 v53, v51, v35, vcc_lo
	v_ashrrev_i32_e32 v35, 31, v34
	global_load_ushort v51, v[32:33], off
	v_add_co_u32 v32, vcc_lo, s14, v4
	v_add_co_ci_u32_e64 v33, null, s15, v5, vcc_lo
	v_lshlrev_b64 v[4:5], 1, v[34:35]
	v_add_nc_u32_e32 v34, 0xa426c, v1
	v_cvt_f16_f32_e32 v55, v53
	v_ashrrev_i32_e32 v35, 31, v34
	v_add_co_u32 v52, vcc_lo, s0, v4
	global_store_short v[32:33], v55, off
	v_add_co_ci_u32_e64 v53, null, s1, v5, vcc_lo
	v_lshlrev_b64 v[32:33], 1, v[34:35]
	v_add_nc_u32_e32 v34, 0xa6488, v1
	v_cmp_eq_u32_e32 vcc_lo, 62, v0
	v_ashrrev_i32_e32 v35, 31, v34
	v_cndmask_b32_e32 v54, v54, v56, vcc_lo
	v_add_co_u32 v2, vcc_lo, s14, v2
	global_load_ushort v56, v[52:53], off
	v_add_co_ci_u32_e64 v3, null, s15, v3, vcc_lo
	v_add_co_u32 v52, vcc_lo, s0, v32
	v_lshlrev_b64 v[34:35], 1, v[34:35]
	v_add_co_ci_u32_e64 v53, null, s1, v33, vcc_lo
	v_cvt_f16_f32_e32 v55, v54
	v_add_nc_u32_e32 v54, 0xa86a4, v1
	global_load_ushort v57, v[52:53], off
	v_add_co_u32 v52, vcc_lo, s0, v34
	v_add_co_ci_u32_e64 v53, null, s1, v35, vcc_lo
	global_store_short v[2:3], v55, off
	v_ashrrev_i32_e32 v55, 31, v54
	global_load_ushort v58, v[52:53], off
	v_add_nc_u32_e32 v52, 0xaa8c0, v1
	v_lshlrev_b64 v[2:3], 1, v[54:55]
	v_ashrrev_i32_e32 v53, 31, v52
	v_add_co_u32 v54, vcc_lo, s0, v2
	v_lshlrev_b64 v[52:53], 1, v[52:53]
	v_add_co_ci_u32_e64 v55, null, s1, v3, vcc_lo
	v_add_co_u32 v12, vcc_lo, s14, v12
	v_add_co_ci_u32_e64 v13, null, s15, v13, vcc_lo
	global_load_ushort v1, v[54:55], off
	v_add_co_u32 v54, vcc_lo, s0, v52
	v_add_co_ci_u32_e64 v55, null, s1, v53, vcc_lo
	v_cmp_eq_u32_e32 vcc_lo, 63, v0
	global_load_ushort v54, v[54:55], off
	s_waitcnt vmcnt(17)
	v_cvt_f32_f16_e32 v36, v36
	v_mul_f32_e32 v36, 0x3fb8aa3b, v36
	v_exp_f32_e32 v36, v36
	s_waitcnt vmcnt(16)
	v_cvt_f32_f16_e32 v37, v37
	v_mul_f32_e32 v37, 0x3fb8aa3b, v37
	v_cvt_f16_f32_e32 v36, v36
	v_exp_f32_e32 v37, v37
	v_cvt_f32_f16_e32 v55, v36
	v_fma_mix_f32 v36, -v45, v36, v44 op_sel_hi:[1,1,1]
	v_mul_f32_e64 v55, v46, -v55
	v_cvt_f16_f32_e32 v37, v37
	s_waitcnt vmcnt(15)
	v_cvt_f32_f16_e32 v38, v38
	v_cndmask_b32_e32 v36, v55, v36, vcc_lo
	s_waitcnt vmcnt(14)
	v_cvt_f32_f16_e32 v39, v39
	v_cvt_f32_f16_e32 v55, v37
	v_fma_mix_f32 v37, -v45, v37, v44 op_sel_hi:[1,1,1]
	v_mul_f32_e32 v38, 0x3fb8aa3b, v38
	v_cvt_f16_f32_e32 v36, v36
	v_cmp_eq_u32_e32 vcc_lo, 64, v0
	v_mul_f32_e64 v55, v46, -v55
	v_mul_f32_e32 v39, 0x3fb8aa3b, v39
	v_exp_f32_e32 v38, v38
	global_store_short v[12:13], v36, off
	v_cndmask_b32_e32 v13, v55, v37, vcc_lo
	v_add_co_u32 v10, vcc_lo, s14, v10
	v_exp_f32_e32 v12, v39
	v_add_co_ci_u32_e64 v11, null, s15, v11, vcc_lo
	v_cvt_f16_f32_e32 v13, v13
	v_cvt_f16_f32_e32 v36, v38
	v_cmp_eq_u32_e32 vcc_lo, 0x41, v0
	global_store_short v[10:11], v13, off
	v_cvt_f32_f16_e32 v37, v36
	v_fma_mix_f32 v36, -v45, v36, v44 op_sel_hi:[1,1,1]
	v_cvt_f16_f32_e32 v12, v12
	s_waitcnt vmcnt(13)
	v_cvt_f32_f16_e32 v38, v41
	v_mul_f32_e64 v37, v46, -v37
	v_cvt_f32_f16_e32 v11, v12
	v_mul_f32_e32 v10, 0x3fb8aa3b, v38
	v_fma_mix_f32 v12, -v45, v12, v44 op_sel_hi:[1,1,1]
	v_cndmask_b32_e32 v13, v37, v36, vcc_lo
	v_mul_f32_e64 v37, v46, -v11
	v_exp_f32_e32 v36, v10
	v_add_co_u32 v10, vcc_lo, s14, v14
	s_waitcnt vmcnt(12)
	v_cvt_f32_f16_e32 v14, v40
	v_add_co_ci_u32_e64 v11, null, s15, v15, vcc_lo
	v_cmp_eq_u32_e32 vcc_lo, 0x42, v0
	v_cvt_f16_f32_e32 v15, v13
	v_mul_f32_e32 v14, 0x3fb8aa3b, v14
	v_cvt_f16_f32_e32 v36, v36
	v_cndmask_b32_e32 v37, v37, v12, vcc_lo
	v_add_co_u32 v12, vcc_lo, s14, v16
	v_exp_f32_e32 v14, v14
	v_cvt_f32_f16_e32 v16, v36
	s_waitcnt vmcnt(11)
	v_cvt_f32_f16_e32 v38, v42
	v_add_co_ci_u32_e64 v13, null, s15, v17, vcc_lo
	v_fma_mix_f32 v36, -v45, v36, v44 op_sel_hi:[1,1,1]
	v_mul_f32_e64 v16, v46, -v16
	v_cmp_eq_u32_e32 vcc_lo, 0x43, v0
	v_cvt_f16_f32_e32 v17, v37
	v_mul_f32_e32 v37, 0x3fb8aa3b, v38
	global_store_short v[10:11], v15, off
	global_store_short v[12:13], v17, off
	v_cndmask_b32_e32 v13, v16, v36, vcc_lo
	v_cvt_f16_f32_e32 v14, v14
	v_add_co_u32 v10, vcc_lo, s14, v20
	v_exp_f32_e32 v12, v37
	v_add_co_ci_u32_e64 v11, null, s15, v21, vcc_lo
	v_cvt_f32_f16_e32 v15, v14
	v_cvt_f16_f32_e32 v13, v13
	s_waitcnt vmcnt(10)
	v_cvt_f32_f16_e32 v16, v43
	v_fma_mix_f32 v14, -v45, v14, v44 op_sel_hi:[1,1,1]
	v_cmp_eq_u32_e32 vcc_lo, 0x44, v0
	v_mul_f32_e64 v15, v46, -v15
	global_store_short v[10:11], v13, off
	v_mul_f32_e32 v10, 0x3fb8aa3b, v16
	v_cvt_f16_f32_e32 v12, v12
	v_cndmask_b32_e32 v13, v15, v14, vcc_lo
	v_exp_f32_e32 v14, v10
	v_cvt_f32_f16_e32 v11, v12
	s_waitcnt vmcnt(9)
	v_cvt_f32_f16_e32 v16, v49
	v_add_co_u32 v10, vcc_lo, s14, v22
	v_fma_mix_f32 v12, -v45, v12, v44 op_sel_hi:[1,1,1]
	v_mul_f32_e64 v15, v46, -v11
	v_add_co_ci_u32_e64 v11, null, s15, v23, vcc_lo
	v_cmp_eq_u32_e32 vcc_lo, 0x45, v0
	v_cvt_f16_f32_e32 v14, v14
	v_mul_f32_e32 v16, 0x3fb8aa3b, v16
	v_cvt_f16_f32_e32 v17, v13
	v_cndmask_b32_e32 v15, v15, v12, vcc_lo
	v_cvt_f32_f16_e32 v21, v14
	v_exp_f32_e32 v16, v16
	v_add_co_u32 v12, vcc_lo, s14, v24
	v_add_co_ci_u32_e64 v13, null, s15, v25, vcc_lo
	v_cvt_f16_f32_e32 v15, v15
	v_fma_mix_f32 v14, -v45, v14, v44 op_sel_hi:[1,1,1]
	v_mul_f32_e64 v21, v46, -v21
	v_cmp_eq_u32_e32 vcc_lo, 0x46, v0
	global_store_short v[10:11], v17, off
	global_store_short v[12:13], v15, off
	s_waitcnt vmcnt(8)
	v_cvt_f32_f16_e32 v20, v47
	v_cndmask_b32_e32 v13, v21, v14, vcc_lo
	v_cvt_f16_f32_e32 v14, v16
	v_add_co_u32 v10, vcc_lo, s14, v26
	v_mul_f32_e32 v20, 0x3fb8aa3b, v20
	v_add_co_ci_u32_e64 v11, null, s15, v27, vcc_lo
	v_cvt_f32_f16_e32 v15, v14
	v_cvt_f16_f32_e32 v13, v13
	v_exp_f32_e32 v12, v20
	v_fma_mix_f32 v14, -v45, v14, v44 op_sel_hi:[1,1,1]
	v_cmp_eq_u32_e32 vcc_lo, 0x47, v0
	v_mul_f32_e64 v15, v46, -v15
	global_store_short v[10:11], v13, off
	s_waitcnt vmcnt(7)
	v_cvt_f32_f16_e32 v16, v48
	v_cndmask_b32_e32 v13, v15, v14, vcc_lo
	v_cvt_f16_f32_e32 v12, v12
	v_mul_f32_e32 v10, 0x3fb8aa3b, v16
	v_cvt_f16_f32_e32 v13, v13
	v_cvt_f32_f16_e32 v11, v12
	v_fma_mix_f32 v12, -v45, v12, v44 op_sel_hi:[1,1,1]
	v_exp_f32_e32 v14, v10
	v_add_co_u32 v10, vcc_lo, s14, v18
	v_mul_f32_e64 v15, v46, -v11
	v_add_co_ci_u32_e64 v11, null, s15, v19, vcc_lo
	s_waitcnt vmcnt(6)
	v_cvt_f32_f16_e32 v16, v50
	v_cmp_eq_u32_e32 vcc_lo, 0x48, v0
	v_cvt_f16_f32_e32 v14, v14
	v_cndmask_b32_e32 v12, v15, v12, vcc_lo
	v_mul_f32_e32 v15, 0x3fb8aa3b, v16
	v_add_co_u32 v8, vcc_lo, s14, v8
	v_cvt_f32_f16_e32 v17, v14
	v_add_co_ci_u32_e64 v9, null, s15, v9, vcc_lo
	v_exp_f32_e32 v15, v15
	v_cvt_f16_f32_e32 v12, v12
	v_fma_mix_f32 v14, -v45, v14, v44 op_sel_hi:[1,1,1]
	v_mul_f32_e64 v17, v46, -v17
	v_cmp_eq_u32_e32 vcc_lo, 0x49, v0
	global_store_short v[10:11], v13, off
	global_store_short v[8:9], v12, off
	v_cndmask_b32_e32 v11, v17, v14, vcc_lo
	s_waitcnt vmcnt(5)
	v_cvt_f32_f16_e32 v16, v51
	v_cvt_f16_f32_e32 v12, v15
	v_add_co_u32 v8, vcc_lo, s14, v28
	v_add_co_ci_u32_e64 v9, null, s15, v29, vcc_lo
	v_mul_f32_e32 v16, 0x3fb8aa3b, v16
	v_cvt_f32_f16_e32 v13, v12
	v_cvt_f16_f32_e32 v11, v11
	v_fma_mix_f32 v12, -v45, v12, v44 op_sel_hi:[1,1,1]
	v_cmp_eq_u32_e32 vcc_lo, 0x4a, v0
	v_exp_f32_e32 v10, v16
	v_mul_f32_e64 v13, v46, -v13
	global_store_short v[8:9], v11, off
	v_cndmask_b32_e32 v11, v13, v12, vcc_lo
	v_add_co_u32 v6, vcc_lo, s14, v6
	v_add_co_ci_u32_e64 v7, null, s15, v7, vcc_lo
	v_cvt_f16_f32_e32 v10, v10
	v_cmp_eq_u32_e32 vcc_lo, 0x4b, v0
	v_cvt_f16_f32_e32 v11, v11
	s_waitcnt vmcnt(4)
	v_cvt_f32_f16_e32 v14, v56
	v_cvt_f32_f16_e32 v9, v10
	v_fma_mix_f32 v10, -v45, v10, v44 op_sel_hi:[1,1,1]
	global_store_short v[6:7], v11, off
	v_mul_f32_e32 v8, 0x3fb8aa3b, v14
	v_mul_f32_e64 v9, v46, -v9
	v_exp_f32_e32 v8, v8
	s_waitcnt vmcnt(3)
	v_cvt_f32_f16_e32 v12, v57
	v_cndmask_b32_e32 v10, v9, v10, vcc_lo
	v_mul_f32_e32 v12, 0x3fb8aa3b, v12
	v_cvt_f16_f32_e32 v10, v10
	s_waitcnt vmcnt(2)
	v_cvt_f32_f16_e32 v14, v58
	v_cvt_f16_f32_e32 v13, v8
	v_exp_f32_e32 v12, v12
	v_add_co_u32 v8, vcc_lo, s14, v30
	v_mul_f32_e32 v6, 0x3fb8aa3b, v14
	v_add_co_ci_u32_e64 v9, null, s15, v31, vcc_lo
	v_cvt_f32_f16_e32 v15, v13
	v_fma_mix_f32 v7, -v45, v13, v44 op_sel_hi:[1,1,1]
	v_exp_f32_e32 v6, v6
	global_store_short v[8:9], v10, off
	v_cvt_f16_f32_e32 v8, v12
	v_mul_f32_e64 v11, v46, -v15
	v_cmp_eq_u32_e32 vcc_lo, 0x4c, v0
	v_cvt_f32_f16_e32 v9, v8
	s_waitcnt vmcnt(1)
	v_cvt_f32_f16_e32 v1, v1
	v_cndmask_b32_e32 v7, v11, v7, vcc_lo
	v_cvt_f16_f32_e32 v6, v6
	v_add_co_u32 v4, vcc_lo, s14, v4
	v_mul_f32_e32 v1, 0x3fb8aa3b, v1
	v_add_co_ci_u32_e64 v5, null, s15, v5, vcc_lo
	s_waitcnt vmcnt(0)
	v_cvt_f32_f16_e32 v10, v54
	v_fma_mix_f32 v8, -v45, v8, v44 op_sel_hi:[1,1,1]
	v_exp_f32_e32 v1, v1
	v_mul_f32_e64 v9, v46, -v9
	v_cmp_eq_u32_e32 vcc_lo, 0x4d, v0
	v_mul_f32_e32 v10, 0x3fb8aa3b, v10
	v_cvt_f16_f32_e32 v12, v7
	v_cvt_f32_f16_e32 v7, v6
	v_cndmask_b32_e32 v8, v9, v8, vcc_lo
	v_exp_f32_e32 v10, v10
	v_fma_mix_f32 v9, -v45, v6, v44 op_sel_hi:[1,1,1]
	v_cvt_f16_f32_e32 v1, v1
	v_add_co_u32 v6, vcc_lo, s14, v32
	v_mul_f32_e64 v11, v46, -v7
	v_add_co_ci_u32_e64 v7, null, s15, v33, vcc_lo
	v_cmp_eq_u32_e32 vcc_lo, 0x4e, v0
	v_cvt_f32_f16_e32 v13, v1
	v_cvt_f16_f32_e32 v10, v10
	v_cvt_f16_f32_e32 v14, v8
	v_fma_mix_f32 v1, -v45, v1, v44 op_sel_hi:[1,1,1]
	v_cndmask_b32_e32 v11, v11, v9, vcc_lo
	v_add_co_u32 v8, vcc_lo, s14, v34
	v_mul_f32_e64 v13, v46, -v13
	v_add_co_ci_u32_e64 v9, null, s15, v35, vcc_lo
	v_cmp_eq_u32_e32 vcc_lo, 0x4f, v0
	v_cvt_f32_f16_e32 v15, v10
	v_cvt_f16_f32_e32 v16, v11
	v_fma_mix_f32 v10, -v45, v10, v44 op_sel_hi:[1,1,1]
	v_cndmask_b32_e32 v11, v13, v1, vcc_lo
	v_add_co_u32 v1, vcc_lo, s14, v2
	v_mul_f32_e64 v13, v46, -v15
	v_add_co_ci_u32_e64 v2, null, s15, v3, vcc_lo
	v_cmp_eq_u32_e32 vcc_lo, 0x50, v0
	v_cvt_f16_f32_e32 v3, v11
	v_cndmask_b32_e32 v0, v13, v10, vcc_lo
	v_add_co_u32 v10, vcc_lo, s14, v52
	v_add_co_ci_u32_e64 v11, null, s15, v53, vcc_lo
	v_cvt_f16_f32_e32 v0, v0
	global_store_short v[4:5], v12, off
	global_store_short v[6:7], v14, off
	;; [unrolled: 1-line block ×5, first 2 shown]
.LBB0_4:
	s_endpgm
	.section	.rodata,"a",@progbits
	.p2align	6, 0x0
	.amdhsa_kernel _Z8loss_bwdI6__halfS0_EvPKT_PKT0_S6_PKlS3_S8_PS4_
		.amdhsa_group_segment_fixed_size 0
		.amdhsa_private_segment_fixed_size 0
		.amdhsa_kernarg_size 56
		.amdhsa_user_sgpr_count 6
		.amdhsa_user_sgpr_private_segment_buffer 1
		.amdhsa_user_sgpr_dispatch_ptr 0
		.amdhsa_user_sgpr_queue_ptr 0
		.amdhsa_user_sgpr_kernarg_segment_ptr 1
		.amdhsa_user_sgpr_dispatch_id 0
		.amdhsa_user_sgpr_flat_scratch_init 0
		.amdhsa_user_sgpr_private_segment_size 0
		.amdhsa_wavefront_size32 1
		.amdhsa_uses_dynamic_stack 0
		.amdhsa_system_sgpr_private_segment_wavefront_offset 0
		.amdhsa_system_sgpr_workgroup_id_x 1
		.amdhsa_system_sgpr_workgroup_id_y 1
		.amdhsa_system_sgpr_workgroup_id_z 0
		.amdhsa_system_sgpr_workgroup_info 0
		.amdhsa_system_vgpr_workitem_id 0
		.amdhsa_next_free_vgpr 65
		.amdhsa_next_free_sgpr 16
		.amdhsa_reserve_vcc 1
		.amdhsa_reserve_flat_scratch 0
		.amdhsa_float_round_mode_32 0
		.amdhsa_float_round_mode_16_64 0
		.amdhsa_float_denorm_mode_32 3
		.amdhsa_float_denorm_mode_16_64 3
		.amdhsa_dx10_clamp 1
		.amdhsa_ieee_mode 1
		.amdhsa_fp16_overflow 0
		.amdhsa_workgroup_processor_mode 1
		.amdhsa_memory_ordered 1
		.amdhsa_forward_progress 1
		.amdhsa_shared_vgpr_count 0
		.amdhsa_exception_fp_ieee_invalid_op 0
		.amdhsa_exception_fp_denorm_src 0
		.amdhsa_exception_fp_ieee_div_zero 0
		.amdhsa_exception_fp_ieee_overflow 0
		.amdhsa_exception_fp_ieee_underflow 0
		.amdhsa_exception_fp_ieee_inexact 0
		.amdhsa_exception_int_div_zero 0
	.end_amdhsa_kernel
	.text
.Lfunc_end0:
	.size	_Z8loss_bwdI6__halfS0_EvPKT_PKT0_S6_PKlS3_S8_PS4_, .Lfunc_end0-_Z8loss_bwdI6__halfS0_EvPKT_PKT0_S6_PKlS3_S8_PS4_
                                        ; -- End function
	.set _Z8loss_bwdI6__halfS0_EvPKT_PKT0_S6_PKlS3_S8_PS4_.num_vgpr, 65
	.set _Z8loss_bwdI6__halfS0_EvPKT_PKT0_S6_PKlS3_S8_PS4_.num_agpr, 0
	.set _Z8loss_bwdI6__halfS0_EvPKT_PKT0_S6_PKlS3_S8_PS4_.numbered_sgpr, 16
	.set _Z8loss_bwdI6__halfS0_EvPKT_PKT0_S6_PKlS3_S8_PS4_.num_named_barrier, 0
	.set _Z8loss_bwdI6__halfS0_EvPKT_PKT0_S6_PKlS3_S8_PS4_.private_seg_size, 0
	.set _Z8loss_bwdI6__halfS0_EvPKT_PKT0_S6_PKlS3_S8_PS4_.uses_vcc, 1
	.set _Z8loss_bwdI6__halfS0_EvPKT_PKT0_S6_PKlS3_S8_PS4_.uses_flat_scratch, 0
	.set _Z8loss_bwdI6__halfS0_EvPKT_PKT0_S6_PKlS3_S8_PS4_.has_dyn_sized_stack, 0
	.set _Z8loss_bwdI6__halfS0_EvPKT_PKT0_S6_PKlS3_S8_PS4_.has_recursion, 0
	.set _Z8loss_bwdI6__halfS0_EvPKT_PKT0_S6_PKlS3_S8_PS4_.has_indirect_call, 0
	.section	.AMDGPU.csdata,"",@progbits
; Kernel info:
; codeLenInByte = 10420
; TotalNumSgprs: 18
; NumVgprs: 65
; ScratchSize: 0
; MemoryBound: 0
; FloatMode: 240
; IeeeMode: 1
; LDSByteSize: 0 bytes/workgroup (compile time only)
; SGPRBlocks: 0
; VGPRBlocks: 8
; NumSGPRsForWavesPerEU: 18
; NumVGPRsForWavesPerEU: 65
; Occupancy: 12
; WaveLimiterHint : 1
; COMPUTE_PGM_RSRC2:SCRATCH_EN: 0
; COMPUTE_PGM_RSRC2:USER_SGPR: 6
; COMPUTE_PGM_RSRC2:TRAP_HANDLER: 0
; COMPUTE_PGM_RSRC2:TGID_X_EN: 1
; COMPUTE_PGM_RSRC2:TGID_Y_EN: 1
; COMPUTE_PGM_RSRC2:TGID_Z_EN: 0
; COMPUTE_PGM_RSRC2:TIDIG_COMP_CNT: 0
	.section	.text._Z8loss_bwdIffEvPKT_PKT0_S5_PKlS2_S7_PS3_,"axG",@progbits,_Z8loss_bwdIffEvPKT_PKT0_S5_PKlS2_S7_PS3_,comdat
	.protected	_Z8loss_bwdIffEvPKT_PKT0_S5_PKlS2_S7_PS3_ ; -- Begin function _Z8loss_bwdIffEvPKT_PKT0_S5_PKlS2_S7_PS3_
	.globl	_Z8loss_bwdIffEvPKT_PKT0_S5_PKlS2_S7_PS3_
	.p2align	8
	.type	_Z8loss_bwdIffEvPKT_PKT0_S5_PKlS2_S7_PS3_,@function
_Z8loss_bwdIffEvPKT_PKT0_S5_PKlS2_S7_PS3_: ; @_Z8loss_bwdIffEvPKT_PKT0_S5_PKlS2_S7_PS3_
; %bb.0:
	v_lshl_add_u32 v0, s6, 6, v0
	s_mov_b32 s0, exec_lo
	v_cmpx_gt_i32_e32 0x221c, v0
	s_cbranch_execz .LBB1_4
; %bb.1:
	s_load_dwordx8 s[8:15], s[4:5], 0x18
	v_mad_u64_u32 v[2:3], null, 0x221c, s7, v[0:1]
	s_load_dwordx4 s[0:3], s[4:5], 0x0
	v_ashrrev_i32_e32 v3, 31, v2
	v_lshlrev_b64 v[0:1], 3, v[2:3]
	v_lshlrev_b64 v[3:4], 2, v[2:3]
	s_waitcnt lgkmcnt(0)
	v_add_co_u32 v5, vcc_lo, s12, v0
	v_add_co_ci_u32_e64 v6, null, s13, v1, vcc_lo
	v_add_co_u32 v0, vcc_lo, s8, v0
	v_add_co_ci_u32_e64 v1, null, s9, v1, vcc_lo
	;; [unrolled: 2-line block ×3, first 2 shown]
	global_load_dwordx2 v[5:6], v[5:6], off
	global_load_dwordx2 v[0:1], v[0:1], off
	global_load_dword v12, v[7:8], off
	s_mov_b32 s2, exec_lo
	s_waitcnt vmcnt(2)
	v_cmpx_ne_u64_e32 0, v[5:6]
	s_cbranch_execz .LBB1_3
; %bb.2:
	s_load_dwordx2 s[4:5], s[4:5], 0x10
	s_waitcnt lgkmcnt(0)
	v_add_co_u32 v5, vcc_lo, s4, v3
	v_add_co_ci_u32_e64 v6, null, s5, v4, vcc_lo
	global_load_dword v1, v[5:6], off
	s_waitcnt vmcnt(0)
	v_add_f32_e32 v12, v12, v1
.LBB1_3:
	s_or_b32 exec_lo, exec_lo, s2
	s_waitcnt vmcnt(1)
	v_mad_u64_u32 v[1:2], null, 0xaa8c0, s7, v[2:3]
	v_add_nc_u32_e32 v5, 0xeec4, v1
	v_mad_u64_u32 v[10:11], null, 0x221c, v0, v[1:2]
	v_add_nc_u32_e32 v2, 0x110e0, v1
	v_add_nc_u32_e32 v23, 0xaa8c, v1
	v_ashrrev_i32_e32 v6, 31, v5
	v_add_nc_u32_e32 v30, 0xcca8, v1
	v_add_nc_u32_e32 v32, 0x1dd88, v1
	;; [unrolled: 1-line block ×3, first 2 shown]
	v_ashrrev_i32_e32 v11, 31, v10
	v_lshlrev_b64 v[26:27], 2, v[5:6]
	v_add_co_u32 v5, vcc_lo, s10, v3
	v_ashrrev_i32_e32 v3, 31, v2
	v_add_co_ci_u32_e64 v6, null, s11, v4, vcc_lo
	v_add_co_u32 v13, vcc_lo, s0, v26
	v_add_co_ci_u32_e64 v14, null, s1, v27, vcc_lo
	v_lshlrev_b64 v[8:9], 2, v[2:3]
	v_lshlrev_b64 v[2:3], 2, v[10:11]
	global_load_dword v18, v[5:6], off
	global_load_dword v51, v[13:14], off
	v_ashrrev_i32_e32 v31, 31, v30
	v_ashrrev_i32_e32 v33, 31, v32
	v_add_co_u32 v4, vcc_lo, s0, v8
	v_add_co_ci_u32_e64 v5, null, s1, v9, vcc_lo
	v_add_co_u32 v2, vcc_lo, s0, v2
	v_add_co_ci_u32_e64 v3, null, s1, v3, vcc_lo
	s_clause 0x1
	global_load_dword v61, v[4:5], off
	global_load_dword v62, v[2:3], off
	v_add_nc_u32_e32 v2, 0x132fc, v1
	v_add_nc_u32_e32 v4, 0x15518, v1
	v_lshlrev_b64 v[30:31], 2, v[30:31]
	v_ashrrev_i32_e32 v43, 31, v42
	v_add_nc_u32_e32 v50, 0x221c0, v1
	v_ashrrev_i32_e32 v3, 31, v2
	v_ashrrev_i32_e32 v5, 31, v4
	v_add_nc_u32_e32 v60, 0x243dc, v1
	v_lshlrev_b64 v[28:29], 2, v[2:3]
	v_lshlrev_b64 v[6:7], 2, v[4:5]
	v_add_co_u32 v2, vcc_lo, s0, v28
	v_add_co_ci_u32_e64 v3, null, s1, v29, vcc_lo
	global_load_dword v44, v[2:3], off
	v_add_co_u32 v2, vcc_lo, s0, v6
	v_add_co_ci_u32_e64 v3, null, s1, v7, vcc_lo
	global_load_dword v45, v[2:3], off
	v_add_nc_u32_e32 v3, 0x221c, v1
	v_ashrrev_i32_e32 v2, 31, v1
	v_ashrrev_i32_e32 v4, 31, v3
	v_lshlrev_b64 v[10:11], 2, v[1:2]
	v_add_nc_u32_e32 v2, 0x4438, v1
	v_lshlrev_b64 v[4:5], 2, v[3:4]
	v_add_co_u32 v13, vcc_lo, s0, v10
	v_add_co_ci_u32_e64 v14, null, s1, v11, vcc_lo
	v_add_co_u32 v15, vcc_lo, s0, v4
	v_add_co_ci_u32_e64 v16, null, s1, v5, vcc_lo
	global_load_dword v38, v[13:14], off
	v_ashrrev_i32_e32 v3, 31, v2
	global_load_dword v37, v[15:16], off
	v_add_nc_u32_e32 v13, 0x6654, v1
	v_add_nc_u32_e32 v16, 0x1bb6c, v1
	v_lshlrev_b64 v[19:20], 2, v[2:3]
	v_ashrrev_i32_e32 v14, 31, v13
	v_ashrrev_i32_e32 v17, 31, v16
	v_add_co_u32 v2, vcc_lo, s0, v19
	v_lshlrev_b64 v[21:22], 2, v[13:14]
	v_add_co_ci_u32_e64 v3, null, s1, v20, vcc_lo
	v_add_co_u32 v14, vcc_lo, s0, v21
	v_add_co_ci_u32_e64 v15, null, s1, v22, vcc_lo
	s_clause 0x1
	global_load_dword v13, v[2:3], off
	global_load_dword v36, v[14:15], off
	v_add_nc_u32_e32 v2, 0x17734, v1
	v_add_nc_u32_e32 v14, 0x19950, v1
	v_ashrrev_i32_e32 v3, 31, v2
	v_ashrrev_i32_e32 v15, 31, v14
	v_lshlrev_b64 v[54:55], 2, v[2:3]
	v_add_co_u32 v2, vcc_lo, s0, v54
	v_add_co_ci_u32_e64 v3, null, s1, v55, vcc_lo
	global_load_dword v34, v[2:3], off
	v_lshlrev_b64 v[2:3], 2, v[14:15]
	v_add_co_u32 v14, vcc_lo, s0, v2
	v_add_co_ci_u32_e64 v15, null, s1, v3, vcc_lo
	global_load_dword v35, v[14:15], off
	v_lshlrev_b64 v[14:15], 2, v[16:17]
	v_add_nc_u32_e32 v16, 0x8870, v1
	v_ashrrev_i32_e32 v17, 31, v16
	v_add_co_u32 v24, vcc_lo, s0, v14
	v_add_co_ci_u32_e64 v25, null, s1, v15, vcc_lo
	v_lshlrev_b64 v[46:47], 2, v[16:17]
	v_add_co_u32 v56, vcc_lo, s14, v10
	v_add_co_ci_u32_e64 v57, null, s15, v11, vcc_lo
	global_load_dword v39, v[24:25], off
	v_add_co_u32 v10, vcc_lo, s0, v46
	v_add_co_ci_u32_e64 v11, null, s1, v47, vcc_lo
	v_add_co_u32 v58, vcc_lo, s14, v4
	v_add_co_ci_u32_e64 v59, null, s15, v5, vcc_lo
	global_load_dword v40, v[10:11], off
	v_ashrrev_i32_e32 v24, 31, v23
	v_add_co_u32 v10, vcc_lo, s14, v19
	v_add_co_ci_u32_e64 v11, null, s15, v20, vcc_lo
	v_lshlrev_b64 v[23:24], 2, v[23:24]
	v_add_co_u32 v4, vcc_lo, s14, v21
	v_add_co_ci_u32_e64 v5, null, s15, v22, vcc_lo
	v_add_co_u32 v20, vcc_lo, s14, v46
	v_lshlrev_b64 v[16:17], 2, v[32:33]
	v_add_co_ci_u32_e64 v21, null, s15, v47, vcc_lo
	v_add_co_u32 v32, vcc_lo, s0, v23
	v_add_co_ci_u32_e64 v33, null, s1, v24, vcc_lo
	v_add_co_u32 v22, vcc_lo, s14, v23
	;; [unrolled: 2-line block ×5, first 2 shown]
	v_add_co_ci_u32_e64 v31, null, s1, v17, vcc_lo
	global_load_dword v41, v[32:33], off
	v_add_co_u32 v52, vcc_lo, s14, v26
	global_load_dword v47, v[30:31], off
	v_lshlrev_b64 v[32:33], 2, v[42:43]
	v_add_co_ci_u32_e64 v53, null, s15, v27, vcc_lo
	v_add_co_u32 v8, vcc_lo, s14, v8
	v_add_co_ci_u32_e64 v9, null, s15, v9, vcc_lo
	global_load_dword v49, v[48:49], off
	s_waitcnt vmcnt(16)
	v_mul_f32_e64 v42, v18, -v12
	s_waitcnt vmcnt(15)
	v_mul_f32_e32 v19, 0x3fb8aa3b, v51
	v_ashrrev_i32_e32 v51, 31, v50
	v_exp_f32_e32 v12, v19
	s_waitcnt vmcnt(14)
	v_mul_f32_e32 v18, 0x3fb8aa3b, v61
	s_waitcnt vmcnt(13)
	v_mul_f32_e32 v43, v42, v62
	v_add_co_u32 v62, vcc_lo, s14, v28
	v_add_co_ci_u32_e64 v63, null, s15, v29, vcc_lo
	v_exp_f32_e32 v28, v18
	v_add_co_u32 v18, vcc_lo, s0, v32
	v_fma_f32 v26, -v43, v12, v42
	v_mul_f32_e64 v12, v43, -v12
	v_add_co_ci_u32_e64 v19, null, s1, v33, vcc_lo
	v_cmp_eq_u32_e32 vcc_lo, 7, v0
	v_ashrrev_i32_e32 v61, 31, v60
	v_fma_f32 v29, -v43, v28, v42
	v_cndmask_b32_e32 v12, v12, v26, vcc_lo
	v_lshlrev_b64 v[26:27], 2, v[50:51]
	global_load_dword v50, v[18:19], off
	v_mul_f32_e64 v30, v43, -v28
	v_add_nc_u32_e32 v28, 0x265f8, v1
	global_store_dword v[52:53], v12, off
	v_add_co_u32 v18, vcc_lo, s0, v26
	v_add_co_ci_u32_e64 v19, null, s1, v27, vcc_lo
	v_cmp_eq_u32_e32 vcc_lo, 8, v0
	global_load_dword v51, v[18:19], off
	v_cndmask_b32_e32 v12, v30, v29, vcc_lo
	v_lshlrev_b64 v[30:31], 2, v[60:61]
	v_ashrrev_i32_e32 v29, 31, v28
	global_store_dword v[8:9], v12, off
	v_add_co_u32 v8, vcc_lo, s0, v30
	v_add_co_ci_u32_e64 v9, null, s1, v31, vcc_lo
	v_lshlrev_b64 v[28:29], 2, v[28:29]
	global_load_dword v53, v[8:9], off
	v_add_co_u32 v8, vcc_lo, s14, v6
	v_add_co_ci_u32_e64 v9, null, s15, v7, vcc_lo
	v_add_co_u32 v54, vcc_lo, s14, v54
	v_add_co_ci_u32_e64 v55, null, s15, v55, vcc_lo
	v_add_co_u32 v6, vcc_lo, s0, v28
	v_add_co_ci_u32_e64 v7, null, s1, v29, vcc_lo
	s_waitcnt vmcnt(13)
	v_mul_f32_e32 v38, 0x3fb8aa3b, v38
	global_load_dword v52, v[6:7], off
	v_add_nc_u32_e32 v18, 0x28814, v1
	v_exp_f32_e32 v46, v38
	v_ashrrev_i32_e32 v19, 31, v18
	v_lshlrev_b64 v[18:19], 2, v[18:19]
	s_waitcnt vmcnt(11)
	v_mul_f32_e32 v36, 0x3fb8aa3b, v36
	v_add_co_u32 v6, vcc_lo, s0, v18
	v_add_co_ci_u32_e64 v7, null, s1, v19, vcc_lo
	v_cmp_eq_u32_e32 vcc_lo, 9, v0
	v_exp_f32_e32 v60, v36
	global_load_dword v48, v[6:7], off
	v_mul_f32_e32 v6, 0x3fb8aa3b, v44
	v_exp_f32_e32 v6, v6
	v_fma_f32 v7, -v43, v6, v42
	v_mul_f32_e64 v6, v43, -v6
	s_waitcnt vmcnt(11)
	v_mul_f32_e32 v34, 0x3fb8aa3b, v34
	v_cndmask_b32_e32 v6, v6, v7, vcc_lo
	v_mul_f32_e32 v7, 0x3fb8aa3b, v45
	v_cmp_eq_u32_e32 vcc_lo, 10, v0
	v_exp_f32_e32 v34, v34
	global_store_dword v[62:63], v6, off
	v_exp_f32_e32 v7, v7
	v_add_nc_u32_e32 v6, 0x2aa30, v1
	s_waitcnt vmcnt(10)
	v_mul_f32_e32 v35, 0x3fb8aa3b, v35
	v_exp_f32_e32 v35, v35
	v_fma_f32 v12, -v43, v7, v42
	v_mul_f32_e64 v44, v43, -v7
	v_ashrrev_i32_e32 v7, 31, v6
	v_cndmask_b32_e32 v12, v44, v12, vcc_lo
	v_lshlrev_b64 v[6:7], 2, v[6:7]
	v_add_nc_u32_e32 v44, 0x2cc4c, v1
	s_waitcnt vmcnt(9)
	v_mul_f32_e32 v39, 0x3fb8aa3b, v39
	global_store_dword v[8:9], v12, off
	v_mul_f32_e32 v12, 0x3fb8aa3b, v37
	v_add_co_u32 v8, vcc_lo, s0, v6
	v_add_co_ci_u32_e64 v9, null, s1, v7, vcc_lo
	v_ashrrev_i32_e32 v45, 31, v44
	v_exp_f32_e32 v12, v12
	v_fma_f32 v37, -v43, v46, v42
	global_load_dword v38, v[8:9], off
	v_mul_f32_e64 v46, v43, -v46
	v_cmp_eq_u32_e32 vcc_lo, 0, v0
	v_lshlrev_b64 v[8:9], 2, v[44:45]
	v_mul_f32_e32 v44, 0x3fb8aa3b, v13
	v_exp_f32_e32 v39, v39
	s_waitcnt vmcnt(9)
	v_mul_f32_e32 v40, 0x3fb8aa3b, v40
	v_cndmask_b32_e32 v37, v46, v37, vcc_lo
	v_fma_f32 v45, -v43, v12, v42
	v_mul_f32_e64 v46, v43, -v12
	v_add_co_u32 v12, vcc_lo, s0, v8
	global_store_dword v[56:57], v37, off
	v_add_co_ci_u32_e64 v13, null, s1, v9, vcc_lo
	v_exp_f32_e32 v37, v44
	v_cmp_eq_u32_e32 vcc_lo, 1, v0
	v_add_nc_u32_e32 v44, 0x31084, v1
	v_exp_f32_e32 v40, v40
	v_cndmask_b32_e32 v36, v46, v45, vcc_lo
	v_add_co_u32 v56, vcc_lo, s14, v2
	v_add_co_ci_u32_e64 v57, null, s15, v3, vcc_lo
	global_store_dword v[58:59], v36, off
	global_load_dword v36, v[12:13], off
	v_fma_f32 v12, -v43, v37, v42
	v_mul_f32_e64 v13, v43, -v37
	v_cmp_eq_u32_e32 vcc_lo, 2, v0
	v_add_nc_u32_e32 v2, 0x2ee68, v1
	v_fma_f32 v37, -v43, v60, v42
	v_mul_f32_e64 v45, v43, -v60
	v_add_nc_u32_e32 v58, 0x332a0, v1
	v_cndmask_b32_e32 v46, v13, v12, vcc_lo
	v_cmp_eq_u32_e32 vcc_lo, 3, v0
	v_ashrrev_i32_e32 v3, 31, v2
	s_waitcnt vmcnt(9)
	v_mul_f32_e32 v41, 0x3fb8aa3b, v41
	v_ashrrev_i32_e32 v59, 31, v58
	global_store_dword v[10:11], v46, off
	v_cndmask_b32_e32 v37, v45, v37, vcc_lo
	v_ashrrev_i32_e32 v45, 31, v44
	v_lshlrev_b64 v[12:13], 2, v[2:3]
	v_add_nc_u32_e32 v2, 0x354bc, v1
	v_exp_f32_e32 v41, v41
	global_store_dword v[4:5], v37, off
	v_lshlrev_b64 v[10:11], 2, v[44:45]
	v_lshlrev_b64 v[4:5], 2, v[58:59]
	v_add_co_u32 v44, vcc_lo, s0, v12
	v_add_co_ci_u32_e64 v45, null, s1, v13, vcc_lo
	v_add_co_u32 v60, vcc_lo, s0, v10
	v_add_co_ci_u32_e64 v61, null, s1, v11, vcc_lo
	s_clause 0x1
	global_load_dword v37, v[44:45], off
	global_load_dword v46, v[60:61], off
	v_ashrrev_i32_e32 v3, 31, v2
	v_add_co_u32 v44, vcc_lo, s0, v4
	v_add_co_ci_u32_e64 v45, null, s1, v5, vcc_lo
	v_lshlrev_b64 v[2:3], 2, v[2:3]
	s_waitcnt vmcnt(9)
	v_mul_f32_e32 v49, 0x3fb8aa3b, v49
	v_mul_f32_e32 v47, 0x3fb8aa3b, v47
	global_load_dword v45, v[44:45], off
	v_add_co_u32 v58, vcc_lo, s0, v2
	v_add_co_ci_u32_e64 v59, null, s1, v3, vcc_lo
	v_cmp_eq_u32_e32 vcc_lo, 11, v0
	v_exp_f32_e32 v49, v49
	v_exp_f32_e32 v47, v47
	global_load_dword v44, v[58:59], off
	v_fma_f32 v58, -v43, v34, v42
	v_mul_f32_e64 v34, v43, -v34
	v_cndmask_b32_e32 v34, v34, v58, vcc_lo
	v_fma_f32 v58, -v43, v35, v42
	v_mul_f32_e64 v35, v43, -v35
	v_cmp_eq_u32_e32 vcc_lo, 12, v0
	v_cndmask_b32_e32 v35, v35, v58, vcc_lo
	v_fma_f32 v58, -v43, v39, v42
	v_mul_f32_e64 v39, v43, -v39
	v_cmp_eq_u32_e32 vcc_lo, 13, v0
	;; [unrolled: 4-line block ×5, first 2 shown]
	v_cndmask_b32_e32 v49, v49, v58, vcc_lo
	v_add_co_u32 v14, vcc_lo, s14, v14
	v_add_co_ci_u32_e64 v15, null, s15, v15, vcc_lo
	global_store_dword v[20:21], v40, off
	global_store_dword v[22:23], v41, off
	;; [unrolled: 1-line block ×6, first 2 shown]
	v_fma_f32 v20, -v43, v47, v42
	v_mul_f32_e64 v21, v43, -v47
	v_cmp_eq_u32_e32 vcc_lo, 14, v0
	v_add_nc_u32_e32 v34, 0x4659c, v1
	v_cndmask_b32_e32 v21, v21, v20, vcc_lo
	s_waitcnt vmcnt(10)
	v_mul_f32_e32 v50, 0x3fb8aa3b, v50
	v_exp_f32_e32 v50, v50
	s_waitcnt vmcnt(9)
	v_mul_f32_e32 v14, 0x3fb8aa3b, v51
	v_fma_f32 v20, -v43, v50, v42
	v_mul_f32_e64 v22, v43, -v50
	v_exp_f32_e32 v23, v14
	v_add_co_u32 v14, vcc_lo, s14, v16
	v_add_co_ci_u32_e64 v15, null, s15, v17, vcc_lo
	v_cmp_eq_u32_e32 vcc_lo, 15, v0
	v_cndmask_b32_e32 v22, v22, v20, vcc_lo
	s_waitcnt vmcnt(8)
	v_mul_f32_e32 v24, 0x3fb8aa3b, v53
	v_add_co_u32 v16, vcc_lo, s14, v32
	v_add_co_ci_u32_e64 v17, null, s15, v33, vcc_lo
	v_exp_f32_e32 v24, v24
	v_fma_f32 v25, -v43, v23, v42
	v_mul_f32_e64 v23, v43, -v23
	v_cmp_eq_u32_e32 vcc_lo, 16, v0
	v_add_nc_u32_e32 v20, 0x376d8, v1
	global_store_dword v[14:15], v21, off
	global_store_dword v[16:17], v22, off
	v_cndmask_b32_e32 v32, v23, v25, vcc_lo
	v_add_co_u32 v14, vcc_lo, s14, v26
	v_ashrrev_i32_e32 v21, 31, v20
	v_fma_f32 v22, -v43, v24, v42
	v_mul_f32_e64 v23, v43, -v24
	s_waitcnt vmcnt(7)
	v_mul_f32_e32 v24, 0x3fb8aa3b, v52
	v_add_co_ci_u32_e64 v15, null, s15, v27, vcc_lo
	v_cmp_eq_u32_e32 vcc_lo, 17, v0
	v_lshlrev_b64 v[16:17], 2, v[20:21]
	v_cndmask_b32_e32 v26, v23, v22, vcc_lo
	v_exp_f32_e32 v23, v24
	v_add_co_u32 v20, vcc_lo, s0, v16
	v_add_co_ci_u32_e64 v21, null, s1, v17, vcc_lo
	v_add_co_u32 v24, vcc_lo, s14, v30
	v_add_nc_u32_e32 v22, 0x398f4, v1
	v_add_co_ci_u32_e64 v25, null, s15, v31, vcc_lo
	v_fma_f32 v27, -v43, v23, v42
	v_mul_f32_e64 v30, v43, -v23
	v_cmp_eq_u32_e32 vcc_lo, 18, v0
	global_load_dword v47, v[20:21], off
	v_ashrrev_i32_e32 v23, 31, v22
	global_store_dword v[14:15], v32, off
	global_store_dword v[24:25], v26, off
	v_add_nc_u32_e32 v20, 0x3bb10, v1
	v_cndmask_b32_e32 v30, v30, v27, vcc_lo
	v_add_co_u32 v24, vcc_lo, s14, v28
	v_add_co_ci_u32_e64 v25, null, s15, v29, vcc_lo
	s_waitcnt vmcnt(7)
	v_mul_f32_e32 v29, 0x3fb8aa3b, v48
	v_add_nc_u32_e32 v28, 0x3dd2c, v1
	v_lshlrev_b64 v[14:15], 2, v[22:23]
	v_ashrrev_i32_e32 v21, 31, v20
	global_store_dword v[24:25], v30, off
	v_exp_f32_e32 v31, v29
	v_ashrrev_i32_e32 v29, 31, v28
	v_lshlrev_b64 v[22:23], 2, v[20:21]
	v_add_co_u32 v26, vcc_lo, s0, v14
	v_lshlrev_b64 v[24:25], 2, v[28:29]
	v_add_co_ci_u32_e64 v27, null, s1, v15, vcc_lo
	v_add_co_u32 v20, vcc_lo, s0, v22
	v_add_co_ci_u32_e64 v21, null, s1, v23, vcc_lo
	global_load_dword v49, v[26:27], off
	v_add_co_u32 v28, vcc_lo, s0, v24
	v_add_co_ci_u32_e64 v29, null, s1, v25, vcc_lo
	v_fma_f32 v30, -v43, v31, v42
	v_mul_f32_e64 v31, v43, -v31
	v_cmp_eq_u32_e32 vcc_lo, 19, v0
	s_clause 0x1
	global_load_dword v51, v[28:29], off
	global_load_dword v50, v[20:21], off
	v_add_nc_u32_e32 v26, 0x3ff48, v1
	v_cndmask_b32_e32 v35, v31, v30, vcc_lo
	v_add_nc_u32_e32 v30, 0x44380, v1
	v_ashrrev_i32_e32 v27, 31, v26
	v_lshlrev_b64 v[20:21], 2, v[26:27]
	v_add_nc_u32_e32 v26, 0x42164, v1
	v_ashrrev_i32_e32 v27, 31, v26
	v_add_co_u32 v28, vcc_lo, s0, v20
	v_add_co_ci_u32_e64 v29, null, s1, v21, vcc_lo
	v_lshlrev_b64 v[26:27], 2, v[26:27]
	v_add_co_u32 v32, vcc_lo, s14, v18
	v_add_co_ci_u32_e64 v33, null, s15, v19, vcc_lo
	global_load_dword v52, v[28:29], off
	v_add_co_u32 v28, vcc_lo, s0, v26
	v_add_co_ci_u32_e64 v29, null, s1, v27, vcc_lo
	s_waitcnt vmcnt(10)
	v_mul_f32_e32 v31, 0x3fb8aa3b, v38
	global_store_dword v[32:33], v35, off
	v_add_nc_u32_e32 v32, 0x487b8, v1
	global_load_dword v54, v[28:29], off
	v_ashrrev_i32_e32 v35, 31, v34
	v_exp_f32_e32 v38, v31
	v_ashrrev_i32_e32 v31, 31, v30
	v_ashrrev_i32_e32 v33, 31, v32
	v_lshlrev_b64 v[18:19], 2, v[30:31]
	v_fma_f32 v39, -v43, v38, v42
	s_waitcnt vmcnt(10)
	v_mul_f32_e32 v36, 0x3fb8aa3b, v36
	v_add_co_u32 v30, vcc_lo, s0, v18
	v_add_co_ci_u32_e64 v31, null, s1, v19, vcc_lo
	v_mul_f32_e64 v38, v43, -v38
	v_exp_f32_e32 v36, v36
	global_load_dword v55, v[30:31], off
	v_lshlrev_b64 v[28:29], 2, v[34:35]
	v_lshlrev_b64 v[30:31], 2, v[32:33]
	v_add_nc_u32_e32 v32, 0x4a9d4, v1
	v_add_co_u32 v34, vcc_lo, s0, v28
	v_add_co_ci_u32_e64 v35, null, s1, v29, vcc_lo
	v_cmp_eq_u32_e32 vcc_lo, 20, v0
	v_ashrrev_i32_e32 v33, 31, v32
	v_mul_f32_e64 v40, v43, -v36
	global_load_dword v56, v[34:35], off
	v_cndmask_b32_e32 v39, v38, v39, vcc_lo
	v_add_co_u32 v34, vcc_lo, s0, v30
	v_lshlrev_b64 v[32:33], 2, v[32:33]
	v_add_co_ci_u32_e64 v35, null, s1, v31, vcc_lo
	v_add_co_u32 v6, vcc_lo, s14, v6
	v_add_co_ci_u32_e64 v7, null, s15, v7, vcc_lo
	global_load_dword v57, v[34:35], off
	v_add_co_u32 v34, vcc_lo, s0, v32
	v_fma_f32 v38, -v43, v36, v42
	v_add_co_ci_u32_e64 v35, null, s1, v33, vcc_lo
	v_cmp_eq_u32_e32 vcc_lo, 21, v0
	v_add_nc_u32_e32 v36, 0x4cbf0, v1
	global_load_dword v58, v[34:35], off
	v_cndmask_b32_e32 v40, v40, v38, vcc_lo
	s_waitcnt vmcnt(13)
	v_mul_f32_e32 v38, 0x3fb8aa3b, v37
	v_ashrrev_i32_e32 v37, 31, v36
	v_add_co_u32 v8, vcc_lo, s14, v8
	v_add_co_ci_u32_e64 v9, null, s15, v9, vcc_lo
	v_exp_f32_e32 v41, v38
	v_lshlrev_b64 v[34:35], 2, v[36:37]
	v_add_nc_u32_e32 v38, 0x4ee0c, v1
	global_store_dword v[6:7], v39, off
	global_store_dword v[8:9], v40, off
	v_add_nc_u32_e32 v8, 0x51028, v1
	v_add_co_u32 v6, vcc_lo, s0, v34
	v_add_co_ci_u32_e64 v7, null, s1, v35, vcc_lo
	v_fma_f32 v9, -v43, v41, v42
	v_mul_f32_e64 v36, v43, -v41
	v_cmp_eq_u32_e32 vcc_lo, 22, v0
	v_ashrrev_i32_e32 v39, 31, v38
	global_load_dword v63, v[6:7], off
	v_cndmask_b32_e32 v40, v36, v9, vcc_lo
	v_ashrrev_i32_e32 v9, 31, v8
	v_lshlrev_b64 v[38:39], 2, v[38:39]
	v_lshlrev_b64 v[36:37], 2, v[8:9]
	v_add_co_u32 v6, vcc_lo, s0, v38
	v_add_co_ci_u32_e64 v7, null, s1, v39, vcc_lo
	v_add_co_u32 v8, vcc_lo, s14, v12
	v_add_co_ci_u32_e64 v9, null, s15, v13, vcc_lo
	v_add_co_u32 v12, vcc_lo, s0, v36
	v_add_co_ci_u32_e64 v13, null, s1, v37, vcc_lo
	global_load_dword v59, v[6:7], off
	global_store_dword v[8:9], v40, off
	v_add_co_u32 v8, vcc_lo, s14, v10
	global_load_dword v61, v[12:13], off
	v_add_nc_u32_e32 v6, 0x53244, v1
	v_add_co_ci_u32_e64 v9, null, s15, v11, vcc_lo
	v_ashrrev_i32_e32 v7, 31, v6
	v_lshlrev_b64 v[40:41], 2, v[6:7]
	v_add_nc_u32_e32 v6, 0x55460, v1
	v_ashrrev_i32_e32 v7, 31, v6
	v_add_co_u32 v12, vcc_lo, s0, v40
	v_add_co_ci_u32_e64 v13, null, s1, v41, vcc_lo
	v_lshlrev_b64 v[10:11], 2, v[6:7]
	global_load_dword v62, v[12:13], off
	v_add_co_u32 v6, vcc_lo, s0, v10
	v_add_co_ci_u32_e64 v7, null, s1, v11, vcc_lo
	v_cmp_eq_u32_e32 vcc_lo, 23, v0
	global_load_dword v60, v[6:7], off
	s_waitcnt vmcnt(17)
	v_mul_f32_e32 v6, 0x3fb8aa3b, v46
	v_exp_f32_e32 v6, v6
	v_fma_f32 v7, -v43, v6, v42
	v_mul_f32_e64 v6, v43, -v6
	v_cndmask_b32_e32 v6, v6, v7, vcc_lo
	v_add_co_u32 v4, vcc_lo, s14, v4
	v_add_co_ci_u32_e64 v5, null, s15, v5, vcc_lo
	global_store_dword v[8:9], v6, off
	v_add_nc_u32_e32 v6, 0x5767c, v1
	v_ashrrev_i32_e32 v7, 31, v6
	v_lshlrev_b64 v[8:9], 2, v[6:7]
	v_add_co_u32 v6, vcc_lo, s0, v8
	v_add_co_ci_u32_e64 v7, null, s1, v9, vcc_lo
	v_cmp_eq_u32_e32 vcc_lo, 24, v0
	global_load_dword v53, v[6:7], off
	s_waitcnt vmcnt(17)
	v_mul_f32_e32 v6, 0x3fb8aa3b, v45
	v_exp_f32_e32 v6, v6
	v_fma_f32 v7, -v43, v6, v42
	v_mul_f32_e64 v6, v43, -v6
	v_cndmask_b32_e32 v6, v6, v7, vcc_lo
	s_waitcnt vmcnt(16)
	v_mul_f32_e32 v7, 0x3fb8aa3b, v44
	v_add_co_u32 v2, vcc_lo, s14, v2
	v_add_co_ci_u32_e64 v3, null, s15, v3, vcc_lo
	global_store_dword v[4:5], v6, off
	v_exp_f32_e32 v6, v7
	v_add_nc_u32_e32 v4, 0x59898, v1
	v_cmp_eq_u32_e32 vcc_lo, 25, v0
	v_ashrrev_i32_e32 v5, 31, v4
	v_fma_f32 v7, -v43, v6, v42
	v_mul_f32_e64 v6, v43, -v6
	v_lshlrev_b64 v[4:5], 2, v[4:5]
	v_cndmask_b32_e32 v12, v6, v7, vcc_lo
	v_add_co_u32 v6, vcc_lo, s0, v4
	v_add_co_ci_u32_e64 v7, null, s1, v5, vcc_lo
	global_store_dword v[2:3], v12, off
	v_add_nc_u32_e32 v2, 0x5bab4, v1
	global_load_dword v48, v[6:7], off
	v_add_co_u32 v6, vcc_lo, s14, v16
	v_ashrrev_i32_e32 v3, 31, v2
	v_add_co_ci_u32_e64 v7, null, s15, v17, vcc_lo
	v_lshlrev_b64 v[2:3], 2, v[2:3]
	v_add_co_u32 v12, vcc_lo, s0, v2
	v_add_co_ci_u32_e64 v13, null, s1, v3, vcc_lo
	v_cmp_eq_u32_e32 vcc_lo, 26, v0
	global_load_dword v44, v[12:13], off
	s_waitcnt vmcnt(17)
	v_mul_f32_e32 v12, 0x3fb8aa3b, v47
	v_exp_f32_e32 v12, v12
	v_fma_f32 v13, -v43, v12, v42
	v_mul_f32_e64 v12, v43, -v12
	s_waitcnt vmcnt(14)
	v_mul_f32_e32 v16, 0x3fb8aa3b, v50
	v_cndmask_b32_e32 v12, v12, v13, vcc_lo
	v_mul_f32_e32 v13, 0x3fb8aa3b, v49
	v_cmp_eq_u32_e32 vcc_lo, 27, v0
	global_store_dword v[6:7], v12, off
	v_exp_f32_e32 v13, v13
	v_exp_f32_e32 v12, v16
	v_mul_f32_e32 v16, 0x3fb8aa3b, v51
	v_fma_f32 v6, -v43, v13, v42
	v_mul_f32_e64 v7, v43, -v13
	v_cndmask_b32_e32 v13, v7, v6, vcc_lo
	v_add_co_u32 v6, vcc_lo, s14, v14
	v_add_co_ci_u32_e64 v7, null, s15, v15, vcc_lo
	v_fma_f32 v14, -v43, v12, v42
	v_mul_f32_e64 v12, v43, -v12
	v_cmp_eq_u32_e32 vcc_lo, 28, v0
	v_exp_f32_e32 v15, v16
	global_store_dword v[6:7], v13, off
	s_waitcnt vmcnt(13)
	v_mul_f32_e32 v16, 0x3fb8aa3b, v52
	v_cndmask_b32_e32 v13, v12, v14, vcc_lo
	v_add_co_u32 v6, vcc_lo, s14, v22
	v_add_co_ci_u32_e64 v7, null, s15, v23, vcc_lo
	v_add_nc_u32_e32 v12, 0x5dcd0, v1
	v_fma_f32 v14, -v43, v15, v42
	v_mul_f32_e64 v15, v43, -v15
	global_store_dword v[6:7], v13, off
	v_cmp_eq_u32_e32 vcc_lo, 29, v0
	v_ashrrev_i32_e32 v13, 31, v12
	v_exp_f32_e32 v16, v16
	v_cndmask_b32_e32 v17, v15, v14, vcc_lo
	v_lshlrev_b64 v[6:7], 2, v[12:13]
	s_waitcnt vmcnt(12)
	v_mul_f32_e32 v14, 0x3fb8aa3b, v54
	v_add_co_u32 v12, vcc_lo, s14, v24
	v_add_co_ci_u32_e64 v13, null, s15, v25, vcc_lo
	v_exp_f32_e32 v22, v14
	v_add_co_u32 v14, vcc_lo, s0, v6
	v_add_co_ci_u32_e64 v15, null, s1, v7, vcc_lo
	v_fma_f32 v23, -v43, v16, v42
	v_mul_f32_e64 v16, v43, -v16
	global_store_dword v[12:13], v17, off
	global_load_dword v45, v[14:15], off
	s_waitcnt vmcnt(12)
	v_mul_f32_e32 v12, 0x3fb8aa3b, v55
	v_cmp_eq_u32_e32 vcc_lo, 30, v0
	v_fma_f32 v14, -v43, v22, v42
	v_mul_f32_e64 v15, v43, -v22
	s_waitcnt vmcnt(11)
	v_mul_f32_e32 v22, 0x3fb8aa3b, v56
	v_exp_f32_e32 v17, v12
	v_cndmask_b32_e32 v16, v16, v23, vcc_lo
	v_add_co_u32 v12, vcc_lo, s14, v20
	v_add_co_ci_u32_e64 v13, null, s15, v21, vcc_lo
	v_cmp_eq_u32_e32 vcc_lo, 31, v0
	v_exp_f32_e32 v21, v22
	global_store_dword v[12:13], v16, off
	s_waitcnt vmcnt(10)
	v_mul_f32_e32 v12, 0x3fb8aa3b, v57
	v_cndmask_b32_e32 v20, v15, v14, vcc_lo
	v_add_co_u32 v14, vcc_lo, s14, v26
	v_add_co_ci_u32_e64 v15, null, s15, v27, vcc_lo
	v_fma_f32 v22, -v43, v17, v42
	v_mul_f32_e64 v17, v43, -v17
	v_cmp_eq_u32_e32 vcc_lo, 32, v0
	global_store_dword v[14:15], v20, off
	v_exp_f32_e32 v15, v12
	v_fma_f32 v14, -v43, v21, v42
	v_mul_f32_e64 v16, v43, -v21
	v_cndmask_b32_e32 v22, v17, v22, vcc_lo
	v_add_co_u32 v12, vcc_lo, s14, v18
	s_waitcnt vmcnt(9)
	v_mul_f32_e32 v17, 0x3fb8aa3b, v58
	v_add_co_ci_u32_e64 v13, null, s15, v19, vcc_lo
	v_cmp_eq_u32_e32 vcc_lo, 33, v0
	v_mul_f32_e64 v18, v43, -v15
	v_exp_f32_e32 v17, v17
	v_cndmask_b32_e32 v19, v16, v14, vcc_lo
	v_add_co_u32 v14, vcc_lo, s14, v28
	v_fma_f32 v16, -v43, v15, v42
	v_add_co_ci_u32_e64 v15, null, s15, v29, vcc_lo
	v_cmp_eq_u32_e32 vcc_lo, 34, v0
	v_mul_f32_e64 v20, v43, -v17
	s_waitcnt vmcnt(8)
	v_mul_f32_e32 v21, 0x3fb8aa3b, v63
	global_store_dword v[12:13], v22, off
	global_store_dword v[14:15], v19, off
	v_add_nc_u32_e32 v14, 0x62108, v1
	v_cndmask_b32_e32 v23, v18, v16, vcc_lo
	v_add_co_u32 v16, vcc_lo, s14, v30
	v_fma_f32 v18, -v43, v17, v42
	v_add_co_ci_u32_e64 v17, null, s15, v31, vcc_lo
	v_cmp_eq_u32_e32 vcc_lo, 35, v0
	v_exp_f32_e32 v25, v21
	v_ashrrev_i32_e32 v15, 31, v14
	v_add_nc_u32_e32 v28, 0x6875c, v1
	v_cndmask_b32_e32 v24, v20, v18, vcc_lo
	v_add_nc_u32_e32 v18, 0x5feec, v1
	v_add_co_u32 v20, vcc_lo, s14, v32
	v_add_co_ci_u32_e64 v21, null, s15, v33, vcc_lo
	v_ashrrev_i32_e32 v19, 31, v18
	global_store_dword v[16:17], v23, off
	global_store_dword v[20:21], v24, off
	v_lshlrev_b64 v[14:15], 2, v[14:15]
	v_fma_f32 v20, -v43, v25, v42
	v_lshlrev_b64 v[12:13], 2, v[18:19]
	s_waitcnt vmcnt(7)
	v_mul_f32_e32 v19, 0x3fb8aa3b, v59
	v_mul_f32_e64 v18, v43, -v25
	s_waitcnt vmcnt(6)
	v_mul_f32_e32 v21, 0x3fb8aa3b, v61
	v_add_co_u32 v16, vcc_lo, s0, v12
	v_add_co_ci_u32_e64 v17, null, s1, v13, vcc_lo
	v_cmp_eq_u32_e32 vcc_lo, 36, v0
	v_exp_f32_e32 v22, v19
	v_exp_f32_e32 v21, v21
	global_load_dword v46, v[16:17], off
	v_cndmask_b32_e32 v20, v18, v20, vcc_lo
	v_add_co_u32 v16, vcc_lo, s0, v14
	v_add_co_ci_u32_e64 v17, null, s1, v15, vcc_lo
	v_add_co_u32 v18, vcc_lo, s14, v34
	v_add_co_ci_u32_e64 v19, null, s15, v35, vcc_lo
	v_fma_f32 v23, -v43, v22, v42
	v_mul_f32_e64 v22, v43, -v22
	global_load_dword v47, v[16:17], off
	s_waitcnt vmcnt(7)
	v_mul_f32_e32 v16, 0x3fb8aa3b, v62
	v_cmp_eq_u32_e32 vcc_lo, 37, v0
	global_store_dword v[18:19], v20, off
	v_fma_f32 v20, -v43, v21, v42
	v_mul_f32_e64 v21, v43, -v21
	v_add_nc_u32_e32 v34, 0x70fcc, v1
	v_cndmask_b32_e32 v29, v22, v23, vcc_lo
	v_exp_f32_e32 v22, v16
	v_add_nc_u32_e32 v16, 0x64324, v1
	v_add_co_u32 v18, vcc_lo, s14, v38
	v_add_co_ci_u32_e64 v19, null, s15, v39, vcc_lo
	v_ashrrev_i32_e32 v17, 31, v16
	v_cmp_eq_u32_e32 vcc_lo, 38, v0
	s_waitcnt vmcnt(6)
	v_mul_f32_e32 v24, 0x3fb8aa3b, v60
	v_fma_f32 v23, -v43, v22, v42
	v_mul_f32_e64 v22, v43, -v22
	v_cndmask_b32_e32 v30, v21, v20, vcc_lo
	v_lshlrev_b64 v[20:21], 2, v[16:17]
	v_add_co_u32 v16, vcc_lo, s14, v36
	v_add_co_ci_u32_e64 v17, null, s15, v37, vcc_lo
	v_cmp_eq_u32_e32 vcc_lo, 39, v0
	v_exp_f32_e32 v32, v24
	v_add_nc_u32_e32 v24, 0x66540, v1
	v_cndmask_b32_e32 v31, v22, v23, vcc_lo
	v_add_co_u32 v22, vcc_lo, s0, v20
	v_add_co_ci_u32_e64 v23, null, s1, v21, vcc_lo
	v_ashrrev_i32_e32 v25, 31, v24
	v_add_co_u32 v26, vcc_lo, s14, v40
	global_load_dword v38, v[22:23], off
	global_store_dword v[18:19], v29, off
	global_store_dword v[16:17], v30, off
	v_ashrrev_i32_e32 v29, 31, v28
	v_add_co_ci_u32_e64 v27, null, s15, v41, vcc_lo
	v_lshlrev_b64 v[16:17], 2, v[24:25]
	v_add_nc_u32_e32 v22, 0x6a978, v1
	v_lshlrev_b64 v[18:19], 2, v[28:29]
	global_store_dword v[26:27], v31, off
	v_add_nc_u32_e32 v26, 0x6cb94, v1
	v_fma_f32 v36, -v43, v32, v42
	v_add_co_u32 v24, vcc_lo, s0, v16
	v_add_co_ci_u32_e64 v25, null, s1, v17, vcc_lo
	v_add_co_u32 v28, vcc_lo, s0, v18
	v_ashrrev_i32_e32 v23, 31, v22
	v_add_co_ci_u32_e64 v29, null, s1, v19, vcc_lo
	v_ashrrev_i32_e32 v27, 31, v26
	global_load_dword v40, v[24:25], off
	s_waitcnt vmcnt(7)
	v_mul_f32_e32 v35, 0x3fb8aa3b, v53
	global_load_dword v41, v[28:29], off
	v_lshlrev_b64 v[24:25], 2, v[22:23]
	v_lshlrev_b64 v[22:23], 2, v[26:27]
	v_add_nc_u32_e32 v26, 0x6edb0, v1
	v_mul_f32_e64 v37, v43, -v32
	v_exp_f32_e32 v39, v35
	v_ashrrev_i32_e32 v35, 31, v34
	v_add_co_u32 v30, vcc_lo, s0, v24
	v_ashrrev_i32_e32 v27, 31, v26
	v_add_co_ci_u32_e64 v31, null, s1, v25, vcc_lo
	v_add_co_u32 v32, vcc_lo, s0, v22
	v_lshlrev_b64 v[28:29], 2, v[26:27]
	v_add_co_ci_u32_e64 v33, null, s1, v23, vcc_lo
	s_clause 0x1
	global_load_dword v51, v[30:31], off
	global_load_dword v49, v[32:33], off
	v_add_co_u32 v30, vcc_lo, s0, v28
	v_lshlrev_b64 v[26:27], 2, v[34:35]
	v_add_co_ci_u32_e64 v31, null, s1, v29, vcc_lo
	v_cmp_eq_u32_e32 vcc_lo, 40, v0
	global_load_dword v50, v[30:31], off
	v_cndmask_b32_e32 v53, v37, v36, vcc_lo
	v_add_co_u32 v34, vcc_lo, s0, v26
	v_add_co_ci_u32_e64 v35, null, s1, v27, vcc_lo
	v_add_co_u32 v10, vcc_lo, s14, v10
	v_fma_f32 v36, -v43, v39, v42
	global_load_dword v52, v[34:35], off
	v_add_nc_u32_e32 v30, 0x731e8, v1
	v_mul_f32_e64 v37, v43, -v39
	v_add_co_ci_u32_e64 v11, null, s15, v11, vcc_lo
	v_cmp_eq_u32_e32 vcc_lo, 41, v0
	v_ashrrev_i32_e32 v31, 31, v30
	v_cndmask_b32_e32 v39, v37, v36, vcc_lo
	v_lshlrev_b64 v[32:33], 2, v[30:31]
	v_add_nc_u32_e32 v30, 0x75404, v1
	v_add_nc_u32_e32 v36, 0x77620, v1
	s_waitcnt vmcnt(11)
	v_mul_f32_e32 v48, 0x3fb8aa3b, v48
	v_add_co_u32 v34, vcc_lo, s0, v32
	v_add_co_ci_u32_e64 v35, null, s1, v33, vcc_lo
	v_ashrrev_i32_e32 v31, 31, v30
	v_add_co_u32 v8, vcc_lo, s14, v8
	v_ashrrev_i32_e32 v37, 31, v36
	v_add_co_ci_u32_e64 v9, null, s15, v9, vcc_lo
	global_load_dword v57, v[34:35], off
	v_lshlrev_b64 v[34:35], 2, v[30:31]
	global_store_dword v[10:11], v53, off
	global_store_dword v[8:9], v39, off
	v_lshlrev_b64 v[8:9], 2, v[36:37]
	v_add_nc_u32_e32 v30, 0x7983c, v1
	v_exp_f32_e32 v39, v48
	v_add_nc_u32_e32 v53, 0x7dc74, v1
	v_add_co_u32 v10, vcc_lo, s0, v34
	v_add_co_ci_u32_e64 v11, null, s1, v35, vcc_lo
	v_add_co_u32 v36, vcc_lo, s0, v8
	v_add_co_ci_u32_e64 v37, null, s1, v9, vcc_lo
	v_ashrrev_i32_e32 v31, 31, v30
	v_add_co_u32 v4, vcc_lo, s14, v4
	global_load_dword v58, v[36:37], off
	v_add_co_ci_u32_e64 v5, null, s15, v5, vcc_lo
	v_lshlrev_b64 v[36:37], 2, v[30:31]
	global_load_dword v48, v[10:11], off
	v_fma_f32 v54, -v43, v39, v42
	v_mul_f32_e64 v39, v43, -v39
	v_add_co_u32 v30, vcc_lo, s0, v36
	v_add_co_ci_u32_e64 v31, null, s1, v37, vcc_lo
	v_cmp_eq_u32_e32 vcc_lo, 42, v0
	global_load_dword v59, v[30:31], off
	v_add_nc_u32_e32 v10, 0x7ba58, v1
	v_cndmask_b32_e32 v39, v39, v54, vcc_lo
	v_ashrrev_i32_e32 v54, 31, v53
	s_waitcnt vmcnt(14)
	v_mul_f32_e32 v30, 0x3fb8aa3b, v44
	v_ashrrev_i32_e32 v11, 31, v10
	global_store_dword v[4:5], v39, off
	v_lshlrev_b64 v[53:54], 2, v[53:54]
	v_lshlrev_b64 v[55:56], 2, v[10:11]
	v_add_co_u32 v10, vcc_lo, s0, v55
	v_add_co_ci_u32_e64 v11, null, s1, v56, vcc_lo
	v_add_co_u32 v4, vcc_lo, s0, v53
	v_add_co_ci_u32_e64 v5, null, s1, v54, vcc_lo
	global_load_dword v60, v[10:11], off
	v_add_co_u32 v2, vcc_lo, s14, v2
	global_load_dword v61, v[4:5], off
	v_add_nc_u32_e32 v4, 0x7fe90, v1
	v_exp_f32_e32 v10, v30
	v_add_co_ci_u32_e64 v3, null, s15, v3, vcc_lo
	v_cmp_eq_u32_e32 vcc_lo, 43, v0
	v_ashrrev_i32_e32 v5, 31, v4
	v_lshlrev_b64 v[30:31], 2, v[4:5]
	v_fma_f32 v11, -v43, v10, v42
	v_mul_f32_e64 v10, v43, -v10
	v_cndmask_b32_e32 v10, v10, v11, vcc_lo
	v_add_co_u32 v4, vcc_lo, s0, v30
	v_add_co_ci_u32_e64 v5, null, s1, v31, vcc_lo
	global_store_dword v[2:3], v10, off
	v_add_co_u32 v2, vcc_lo, s14, v6
	global_load_dword v62, v[4:5], off
	v_add_nc_u32_e32 v4, 0x820ac, v1
	v_add_co_ci_u32_e64 v3, null, s15, v7, vcc_lo
	v_ashrrev_i32_e32 v5, 31, v4
	v_lshlrev_b64 v[10:11], 2, v[4:5]
	v_add_co_u32 v4, vcc_lo, s0, v10
	v_add_co_ci_u32_e64 v5, null, s1, v11, vcc_lo
	v_cmp_eq_u32_e32 vcc_lo, 44, v0
	global_load_dword v44, v[4:5], off
	s_waitcnt vmcnt(17)
	v_mul_f32_e32 v4, 0x3fb8aa3b, v45
	v_exp_f32_e32 v4, v4
	v_fma_f32 v5, -v43, v4, v42
	v_mul_f32_e64 v4, v43, -v4
	v_cndmask_b32_e32 v4, v4, v5, vcc_lo
	global_store_dword v[2:3], v4, off
	v_add_nc_u32_e32 v2, 0x842c8, v1
	v_add_co_u32 v4, vcc_lo, s14, v12
	v_add_co_ci_u32_e64 v5, null, s15, v13, vcc_lo
	v_ashrrev_i32_e32 v3, 31, v2
	v_add_co_u32 v6, vcc_lo, s14, v14
	v_add_co_ci_u32_e64 v7, null, s15, v15, vcc_lo
	v_lshlrev_b64 v[2:3], 2, v[2:3]
	v_add_co_u32 v12, vcc_lo, s14, v20
	v_add_co_ci_u32_e64 v13, null, s15, v21, vcc_lo
	v_add_co_u32 v14, vcc_lo, s0, v2
	v_add_co_ci_u32_e64 v15, null, s1, v3, vcc_lo
	v_cmp_eq_u32_e32 vcc_lo, 45, v0
	global_load_dword v39, v[14:15], off
	s_waitcnt vmcnt(17)
	v_mul_f32_e32 v14, 0x3fb8aa3b, v46
	v_exp_f32_e32 v14, v14
	v_fma_f32 v15, -v43, v14, v42
	v_mul_f32_e64 v14, v43, -v14
	v_cndmask_b32_e32 v14, v14, v15, vcc_lo
	s_waitcnt vmcnt(16)
	v_mul_f32_e32 v15, 0x3fb8aa3b, v47
	v_cmp_eq_u32_e32 vcc_lo, 46, v0
	global_store_dword v[4:5], v14, off
	v_exp_f32_e32 v15, v15
	v_fma_f32 v20, -v43, v15, v42
	v_mul_f32_e64 v15, v43, -v15
	v_cndmask_b32_e32 v15, v15, v20, vcc_lo
	v_cmp_eq_u32_e32 vcc_lo, 47, v0
	s_waitcnt vmcnt(15)
	v_mul_f32_e32 v20, 0x3fb8aa3b, v38
	v_exp_f32_e32 v20, v20
	v_fma_f32 v21, -v43, v20, v42
	v_mul_f32_e64 v20, v43, -v20
	v_cndmask_b32_e32 v20, v20, v21, vcc_lo
	s_waitcnt vmcnt(14)
	v_mul_f32_e32 v21, 0x3fb8aa3b, v40
	s_waitcnt vmcnt(13)
	v_mul_f32_e32 v38, 0x3fb8aa3b, v41
	v_cmp_eq_u32_e32 vcc_lo, 48, v0
	global_store_dword v[6:7], v15, off
	global_store_dword v[12:13], v20, off
	v_exp_f32_e32 v21, v21
	v_exp_f32_e32 v38, v38
	v_fma_f32 v4, -v43, v21, v42
	v_mul_f32_e64 v5, v43, -v21
	v_fma_f32 v7, -v43, v38, v42
	v_mul_f32_e64 v13, v43, -v38
	s_waitcnt vmcnt(12)
	v_mul_f32_e32 v6, 0x3fb8aa3b, v51
	v_add_nc_u32_e32 v38, 0x9b9fc, v1
	v_cndmask_b32_e32 v12, v5, v4, vcc_lo
	v_add_co_u32 v4, vcc_lo, s14, v16
	v_exp_f32_e32 v14, v6
	s_waitcnt vmcnt(11)
	v_mul_f32_e32 v6, 0x3fb8aa3b, v49
	v_add_co_ci_u32_e64 v5, null, s15, v17, vcc_lo
	v_cmp_eq_u32_e32 vcc_lo, 49, v0
	s_waitcnt vmcnt(10)
	v_mul_f32_e32 v17, 0x3fb8aa3b, v50
	v_exp_f32_e32 v15, v6
	v_add_nc_u32_e32 v50, 0xa86a4, v1
	v_cndmask_b32_e32 v13, v13, v7, vcc_lo
	v_add_co_u32 v6, vcc_lo, s14, v18
	v_add_co_ci_u32_e64 v7, null, s15, v19, vcc_lo
	v_fma_f32 v16, -v43, v14, v42
	v_mul_f32_e64 v14, v43, -v14
	v_cmp_eq_u32_e32 vcc_lo, 50, v0
	global_store_dword v[4:5], v12, off
	global_store_dword v[6:7], v13, off
	v_exp_f32_e32 v6, v17
	v_fma_f32 v7, -v43, v15, v42
	v_mul_f32_e64 v12, v43, -v15
	v_cndmask_b32_e32 v14, v14, v16, vcc_lo
	v_add_co_u32 v4, vcc_lo, s14, v24
	v_add_co_ci_u32_e64 v5, null, s15, v25, vcc_lo
	v_cmp_eq_u32_e32 vcc_lo, 51, v0
	s_waitcnt vmcnt(9)
	v_mul_f32_e32 v13, 0x3fb8aa3b, v52
	v_mul_f32_e64 v16, v43, -v6
	global_store_dword v[4:5], v14, off
	v_add_nc_u32_e32 v24, 0x9318c, v1
	v_cndmask_b32_e32 v15, v12, v7, vcc_lo
	v_fma_f32 v12, -v43, v6, v42
	v_add_co_u32 v6, vcc_lo, s14, v22
	v_exp_f32_e32 v17, v13
	v_add_co_ci_u32_e64 v7, null, s15, v23, vcc_lo
	v_cmp_eq_u32_e32 vcc_lo, 52, v0
	v_ashrrev_i32_e32 v51, 31, v50
	s_waitcnt vmcnt(8)
	v_mul_f32_e32 v13, 0x3fb8aa3b, v57
	v_cndmask_b32_e32 v16, v16, v12, vcc_lo
	v_add_co_u32 v12, vcc_lo, s14, v28
	v_fma_f32 v4, -v43, v17, v42
	v_exp_f32_e32 v18, v13
	v_add_co_ci_u32_e64 v13, null, s15, v29, vcc_lo
	v_mul_f32_e64 v5, v43, -v17
	v_cmp_eq_u32_e32 vcc_lo, 53, v0
	global_store_dword v[6:7], v15, off
	global_store_dword v[12:13], v16, off
	v_cndmask_b32_e32 v12, v5, v4, vcc_lo
	v_add_co_u32 v4, vcc_lo, s14, v26
	v_fma_f32 v7, -v43, v18, v42
	v_mul_f32_e64 v13, v43, -v18
	v_add_co_ci_u32_e64 v5, null, s15, v27, vcc_lo
	v_cmp_eq_u32_e32 vcc_lo, 54, v0
	s_waitcnt vmcnt(6)
	v_mul_f32_e32 v6, 0x3fb8aa3b, v48
	v_add_nc_u32_e32 v18, 0x8ed54, v1
	v_cndmask_b32_e32 v13, v13, v7, vcc_lo
	v_exp_f32_e32 v14, v6
	v_mul_f32_e32 v6, 0x3fb8aa3b, v58
	v_exp_f32_e32 v15, v6
	v_add_co_u32 v6, vcc_lo, s14, v32
	s_waitcnt vmcnt(5)
	v_mul_f32_e32 v17, 0x3fb8aa3b, v59
	v_add_co_ci_u32_e64 v7, null, s15, v33, vcc_lo
	v_fma_f32 v16, -v43, v14, v42
	v_mul_f32_e64 v14, v43, -v14
	v_cmp_eq_u32_e32 vcc_lo, 55, v0
	global_store_dword v[4:5], v12, off
	global_store_dword v[6:7], v13, off
	v_exp_f32_e32 v6, v17
	v_fma_f32 v7, -v43, v15, v42
	v_mul_f32_e64 v13, v43, -v15
	v_cndmask_b32_e32 v12, v14, v16, vcc_lo
	v_add_co_u32 v4, vcc_lo, s14, v34
	v_add_co_ci_u32_e64 v5, null, s15, v35, vcc_lo
	v_cmp_eq_u32_e32 vcc_lo, 56, v0
	v_fma_f32 v15, -v43, v6, v42
	v_mul_f32_e64 v16, v43, -v6
	v_cndmask_b32_e32 v13, v13, v7, vcc_lo
	v_add_co_u32 v6, vcc_lo, s14, v8
	s_waitcnt vmcnt(4)
	v_mul_f32_e32 v14, 0x3fb8aa3b, v60
	v_add_co_ci_u32_e64 v7, null, s15, v9, vcc_lo
	s_waitcnt vmcnt(3)
	v_mul_f32_e32 v17, 0x3fb8aa3b, v61
	v_cmp_eq_u32_e32 vcc_lo, 57, v0
	v_exp_f32_e32 v14, v14
	v_cndmask_b32_e32 v15, v16, v15, vcc_lo
	v_exp_f32_e32 v16, v17
	v_add_co_u32 v8, vcc_lo, s14, v36
	v_add_co_ci_u32_e64 v9, null, s15, v37, vcc_lo
	v_fma_f32 v17, -v43, v14, v42
	v_mul_f32_e64 v14, v43, -v14
	v_cmp_eq_u32_e32 vcc_lo, 58, v0
	global_store_dword v[4:5], v12, off
	global_store_dword v[6:7], v13, off
	;; [unrolled: 1-line block ×3, first 2 shown]
	v_add_nc_u32_e32 v4, 0x864e4, v1
	v_fma_f32 v5, -v43, v16, v42
	v_mul_f32_e64 v8, v43, -v16
	v_cndmask_b32_e32 v13, v14, v17, vcc_lo
	v_add_co_u32 v6, vcc_lo, s14, v55
	v_add_co_ci_u32_e64 v7, null, s15, v56, vcc_lo
	v_cmp_eq_u32_e32 vcc_lo, 59, v0
	v_add_nc_u32_e32 v12, 0x88700, v1
	s_waitcnt vmcnt(2)
	v_mul_f32_e32 v15, 0x3fb8aa3b, v62
	v_cndmask_b32_e32 v14, v8, v5, vcc_lo
	v_add_co_u32 v8, vcc_lo, s14, v53
	v_ashrrev_i32_e32 v5, 31, v4
	v_add_co_ci_u32_e64 v9, null, s15, v54, vcc_lo
	global_store_dword v[6:7], v13, off
	global_store_dword v[8:9], v14, off
	v_add_nc_u32_e32 v8, 0x8a91c, v1
	v_lshlrev_b64 v[4:5], 2, v[4:5]
	v_ashrrev_i32_e32 v13, 31, v12
	v_exp_f32_e32 v16, v15
	v_ashrrev_i32_e32 v9, 31, v8
	v_add_co_u32 v14, vcc_lo, s0, v4
	v_lshlrev_b64 v[6:7], 2, v[12:13]
	v_add_co_ci_u32_e64 v15, null, s1, v5, vcc_lo
	v_lshlrev_b64 v[8:9], 2, v[8:9]
	v_add_nc_u32_e32 v12, 0x8cb38, v1
	v_fma_f32 v19, -v43, v16, v42
	global_load_dword v28, v[14:15], off
	v_add_co_u32 v14, vcc_lo, s0, v6
	v_mul_f32_e64 v20, v43, -v16
	v_add_co_ci_u32_e64 v15, null, s1, v7, vcc_lo
	v_add_co_u32 v16, vcc_lo, s0, v8
	v_add_co_ci_u32_e64 v17, null, s1, v9, vcc_lo
	v_cmp_eq_u32_e32 vcc_lo, 60, v0
	v_ashrrev_i32_e32 v13, 31, v12
	s_clause 0x1
	global_load_dword v32, v[14:15], off
	global_load_dword v29, v[16:17], off
	s_waitcnt vmcnt(4)
	v_mul_f32_e32 v26, 0x3fb8aa3b, v44
	v_add_nc_u32_e32 v44, 0xa2050, v1
	v_cndmask_b32_e32 v25, v20, v19, vcc_lo
	v_ashrrev_i32_e32 v19, 31, v18
	v_lshlrev_b64 v[12:13], 2, v[12:13]
	v_exp_f32_e32 v26, v26
	v_lshlrev_b64 v[14:15], 2, v[18:19]
	v_add_nc_u32_e32 v18, 0x90f70, v1
	v_add_co_u32 v16, vcc_lo, s0, v12
	v_add_co_ci_u32_e64 v17, null, s1, v13, vcc_lo
	v_add_co_u32 v20, vcc_lo, s14, v30
	v_add_co_ci_u32_e64 v21, null, s15, v31, vcc_lo
	v_add_co_u32 v22, vcc_lo, s0, v14
	v_ashrrev_i32_e32 v19, 31, v18
	v_add_co_ci_u32_e64 v23, null, s1, v15, vcc_lo
	global_load_dword v30, v[16:17], off
	global_store_dword v[20:21], v25, off
	v_ashrrev_i32_e32 v25, 31, v24
	global_load_dword v31, v[22:23], off
	v_lshlrev_b64 v[16:17], 2, v[18:19]
	v_add_nc_u32_e32 v22, 0x953a8, v1
	v_lshlrev_b64 v[18:19], 2, v[24:25]
	v_fma_f32 v25, -v43, v26, v42
	v_mul_f32_e64 v26, v43, -v26
	v_add_co_u32 v20, vcc_lo, s0, v16
	v_add_co_ci_u32_e64 v21, null, s1, v17, vcc_lo
	v_ashrrev_i32_e32 v23, 31, v22
	v_add_nc_u32_e32 v24, 0x975c4, v1
	global_load_dword v33, v[20:21], off
	v_add_co_u32 v20, vcc_lo, s0, v18
	v_lshlrev_b64 v[22:23], 2, v[22:23]
	v_add_co_ci_u32_e64 v21, null, s1, v19, vcc_lo
	v_cmp_eq_u32_e32 vcc_lo, 61, v0
	global_load_dword v34, v[20:21], off
	v_cndmask_b32_e32 v40, v26, v25, vcc_lo
	v_add_co_u32 v26, vcc_lo, s0, v22
	v_ashrrev_i32_e32 v25, 31, v24
	v_add_co_ci_u32_e64 v27, null, s1, v23, vcc_lo
	v_add_co_u32 v36, vcc_lo, s14, v10
	s_waitcnt vmcnt(7)
	v_mul_f32_e32 v10, 0x3fb8aa3b, v39
	global_load_dword v35, v[26:27], off
	v_lshlrev_b64 v[20:21], 2, v[24:25]
	v_add_nc_u32_e32 v24, 0x997e0, v1
	v_add_co_ci_u32_e64 v37, null, s15, v11, vcc_lo
	v_exp_f32_e32 v41, v10
	v_ashrrev_i32_e32 v39, 31, v38
	v_ashrrev_i32_e32 v25, 31, v24
	v_add_co_u32 v26, vcc_lo, s0, v20
	v_add_co_ci_u32_e64 v27, null, s1, v21, vcc_lo
	v_lshlrev_b64 v[10:11], 2, v[24:25]
	global_store_dword v[36:37], v40, off
	v_add_nc_u32_e32 v24, 0x9dc18, v1
	global_load_dword v52, v[26:27], off
	v_fma_f32 v45, -v43, v41, v42
	v_mul_f32_e64 v46, v43, -v41
	v_add_co_u32 v36, vcc_lo, s0, v10
	v_add_co_ci_u32_e64 v37, null, s1, v11, vcc_lo
	v_ashrrev_i32_e32 v25, 31, v24
	global_load_dword v53, v[36:37], off
	v_add_nc_u32_e32 v36, 0x9fe34, v1
	v_lshlrev_b64 v[26:27], 2, v[38:39]
	v_lshlrev_b64 v[24:25], 2, v[24:25]
	v_ashrrev_i32_e32 v37, 31, v36
	v_add_co_u32 v38, vcc_lo, s0, v26
	v_add_co_ci_u32_e64 v39, null, s1, v27, vcc_lo
	v_add_co_u32 v40, vcc_lo, s0, v24
	v_lshlrev_b64 v[36:37], 2, v[36:37]
	v_add_co_ci_u32_e64 v41, null, s1, v25, vcc_lo
	v_cmp_eq_u32_e32 vcc_lo, 62, v0
	s_clause 0x1
	global_load_dword v55, v[38:39], off
	global_load_dword v56, v[40:41], off
	v_add_nc_u32_e32 v38, 0xa426c, v1
	v_cndmask_b32_e32 v54, v46, v45, vcc_lo
	v_add_co_u32 v40, vcc_lo, s0, v36
	v_add_co_ci_u32_e64 v41, null, s1, v37, vcc_lo
	v_ashrrev_i32_e32 v45, 31, v44
	v_ashrrev_i32_e32 v39, 31, v38
	v_add_co_u32 v2, vcc_lo, s14, v2
	global_load_dword v57, v[40:41], off
	v_add_nc_u32_e32 v40, 0xa6488, v1
	v_lshlrev_b64 v[44:45], 2, v[44:45]
	v_lshlrev_b64 v[38:39], 2, v[38:39]
	v_add_co_ci_u32_e64 v3, null, s15, v3, vcc_lo
	v_ashrrev_i32_e32 v41, 31, v40
	v_add_co_u32 v46, vcc_lo, s0, v44
	v_add_co_ci_u32_e64 v47, null, s1, v45, vcc_lo
	v_add_co_u32 v48, vcc_lo, s0, v38
	v_lshlrev_b64 v[40:41], 2, v[40:41]
	v_add_co_ci_u32_e64 v49, null, s1, v39, vcc_lo
	s_clause 0x1
	global_load_dword v58, v[46:47], off
	global_load_dword v59, v[48:49], off
	v_add_co_u32 v46, vcc_lo, s0, v40
	v_lshlrev_b64 v[48:49], 2, v[50:51]
	v_add_co_ci_u32_e64 v47, null, s1, v41, vcc_lo
	global_store_dword v[2:3], v54, off
	global_load_dword v50, v[46:47], off
	v_add_co_u32 v46, vcc_lo, s0, v48
	v_add_co_ci_u32_e64 v47, null, s1, v49, vcc_lo
	global_load_dword v51, v[46:47], off
	v_add_nc_u32_e32 v46, 0xaa8c0, v1
	v_ashrrev_i32_e32 v47, 31, v46
	v_lshlrev_b64 v[46:47], 2, v[46:47]
	v_add_co_u32 v1, vcc_lo, s0, v46
	v_add_co_ci_u32_e64 v2, null, s1, v47, vcc_lo
	v_cmp_eq_u32_e32 vcc_lo, 63, v0
	global_load_dword v54, v[1:2], off
	s_waitcnt vmcnt(17)
	v_mul_f32_e32 v1, 0x3fb8aa3b, v28
	v_exp_f32_e32 v1, v1
	s_waitcnt vmcnt(16)
	v_mul_f32_e32 v2, 0x3fb8aa3b, v32
	s_waitcnt vmcnt(15)
	v_mul_f32_e32 v28, 0x3fb8aa3b, v29
	v_fma_f32 v3, -v43, v1, v42
	v_mul_f32_e64 v1, v43, -v1
	v_exp_f32_e32 v29, v2
	v_exp_f32_e32 v28, v28
	v_cndmask_b32_e32 v3, v1, v3, vcc_lo
	v_add_co_u32 v1, vcc_lo, s14, v4
	v_add_co_ci_u32_e64 v2, null, s15, v5, vcc_lo
	v_cmp_eq_u32_e32 vcc_lo, 64, v0
	v_fma_f32 v4, -v43, v29, v42
	v_mul_f32_e64 v5, v43, -v29
	global_store_dword v[1:2], v3, off
	v_fma_f32 v3, -v43, v28, v42
	v_cndmask_b32_e32 v5, v5, v4, vcc_lo
	v_mul_f32_e64 v4, v43, -v28
	s_waitcnt vmcnt(14)
	v_mul_f32_e32 v1, 0x3fb8aa3b, v30
	s_waitcnt vmcnt(13)
	v_mul_f32_e32 v29, 0x3fb8aa3b, v31
	v_exp_f32_e32 v28, v1
	v_add_co_u32 v1, vcc_lo, s14, v6
	v_add_co_ci_u32_e64 v2, null, s15, v7, vcc_lo
	v_cmp_eq_u32_e32 vcc_lo, 0x41, v0
	v_exp_f32_e32 v7, v29
	v_cndmask_b32_e32 v6, v4, v3, vcc_lo
	v_add_co_u32 v3, vcc_lo, s14, v8
	v_add_co_ci_u32_e64 v4, null, s15, v9, vcc_lo
	v_fma_f32 v8, -v43, v28, v42
	v_mul_f32_e64 v9, v43, -v28
	s_waitcnt vmcnt(12)
	v_mul_f32_e32 v28, 0x3fb8aa3b, v33
	v_cmp_eq_u32_e32 vcc_lo, 0x42, v0
	global_store_dword v[1:2], v5, off
	global_store_dword v[3:4], v6, off
	v_fma_f32 v4, -v43, v7, v42
	v_mul_f32_e64 v5, v43, -v7
	v_exp_f32_e32 v3, v28
	v_cndmask_b32_e32 v8, v9, v8, vcc_lo
	v_add_co_u32 v1, vcc_lo, s14, v12
	v_add_co_ci_u32_e64 v2, null, s15, v13, vcc_lo
	v_cmp_eq_u32_e32 vcc_lo, 0x43, v0
	s_waitcnt vmcnt(11)
	v_mul_f32_e32 v6, 0x3fb8aa3b, v34
	global_store_dword v[1:2], v8, off
	v_mul_f32_e64 v9, v43, -v3
	v_cndmask_b32_e32 v7, v5, v4, vcc_lo
	v_fma_f32 v5, -v43, v3, v42
	v_add_co_u32 v3, vcc_lo, s14, v14
	v_exp_f32_e32 v12, v6
	v_add_co_ci_u32_e64 v4, null, s15, v15, vcc_lo
	v_cmp_eq_u32_e32 vcc_lo, 0x44, v0
	s_waitcnt vmcnt(10)
	v_mul_f32_e32 v6, 0x3fb8aa3b, v35
	v_cndmask_b32_e32 v9, v9, v5, vcc_lo
	v_add_co_u32 v5, vcc_lo, s14, v16
	v_exp_f32_e32 v13, v6
	v_add_co_ci_u32_e64 v6, null, s15, v17, vcc_lo
	v_fma_f32 v1, -v43, v12, v42
	v_mul_f32_e64 v2, v43, -v12
	v_cmp_eq_u32_e32 vcc_lo, 0x45, v0
	global_store_dword v[3:4], v7, off
	global_store_dword v[5:6], v9, off
	s_waitcnt vmcnt(9)
	v_mul_f32_e32 v3, 0x3fb8aa3b, v52
	v_cndmask_b32_e32 v5, v2, v1, vcc_lo
	v_add_co_u32 v1, vcc_lo, s14, v18
	v_exp_f32_e32 v7, v3
	v_fma_f32 v4, -v43, v13, v42
	v_mul_f32_e64 v6, v43, -v13
	s_waitcnt vmcnt(8)
	v_mul_f32_e32 v3, 0x3fb8aa3b, v53
	v_add_co_ci_u32_e64 v2, null, s15, v19, vcc_lo
	v_cmp_eq_u32_e32 vcc_lo, 0x46, v0
	v_exp_f32_e32 v8, v3
	v_fma_f32 v9, -v43, v7, v42
	v_cndmask_b32_e32 v6, v6, v4, vcc_lo
	v_add_co_u32 v3, vcc_lo, s14, v22
	s_waitcnt vmcnt(7)
	v_mul_f32_e32 v12, 0x3fb8aa3b, v55
	v_add_co_ci_u32_e64 v4, null, s15, v23, vcc_lo
	v_mul_f32_e64 v7, v43, -v7
	v_cmp_eq_u32_e32 vcc_lo, 0x47, v0
	global_store_dword v[1:2], v5, off
	global_store_dword v[3:4], v6, off
	v_exp_f32_e32 v3, v12
	v_fma_f32 v4, -v43, v8, v42
	v_mul_f32_e64 v5, v43, -v8
	v_cndmask_b32_e32 v7, v7, v9, vcc_lo
	v_add_co_u32 v1, vcc_lo, s14, v20
	v_add_co_ci_u32_e64 v2, null, s15, v21, vcc_lo
	v_cmp_eq_u32_e32 vcc_lo, 0x48, v0
	s_waitcnt vmcnt(6)
	v_mul_f32_e32 v6, 0x3fb8aa3b, v56
	v_mul_f32_e64 v9, v43, -v3
	global_store_dword v[1:2], v7, off
	v_cndmask_b32_e32 v8, v5, v4, vcc_lo
	v_fma_f32 v5, -v43, v3, v42
	v_add_co_u32 v3, vcc_lo, s14, v10
	v_exp_f32_e32 v12, v6
	v_add_co_ci_u32_e64 v4, null, s15, v11, vcc_lo
	v_cmp_eq_u32_e32 vcc_lo, 0x49, v0
	s_waitcnt vmcnt(5)
	v_mul_f32_e32 v6, 0x3fb8aa3b, v57
	v_cndmask_b32_e32 v9, v9, v5, vcc_lo
	v_add_co_u32 v5, vcc_lo, s14, v26
	v_exp_f32_e32 v10, v6
	v_add_co_ci_u32_e64 v6, null, s15, v27, vcc_lo
	v_fma_f32 v1, -v43, v12, v42
	v_mul_f32_e64 v2, v43, -v12
	v_cmp_eq_u32_e32 vcc_lo, 0x4a, v0
	global_store_dword v[3:4], v8, off
	global_store_dword v[5:6], v9, off
	s_waitcnt vmcnt(4)
	v_mul_f32_e32 v3, 0x3fb8aa3b, v58
	v_cndmask_b32_e32 v5, v2, v1, vcc_lo
	v_add_co_u32 v1, vcc_lo, s14, v24
	v_exp_f32_e32 v7, v3
	v_fma_f32 v4, -v43, v10, v42
	v_mul_f32_e64 v6, v43, -v10
	s_waitcnt vmcnt(3)
	v_mul_f32_e32 v3, 0x3fb8aa3b, v59
	v_add_co_ci_u32_e64 v2, null, s15, v25, vcc_lo
	v_cmp_eq_u32_e32 vcc_lo, 0x4b, v0
	s_waitcnt vmcnt(2)
	v_mul_f32_e32 v10, 0x3fb8aa3b, v50
	v_exp_f32_e32 v8, v3
	v_fma_f32 v9, -v43, v7, v42
	v_cndmask_b32_e32 v6, v6, v4, vcc_lo
	v_add_co_u32 v3, vcc_lo, s14, v36
	v_add_co_ci_u32_e64 v4, null, s15, v37, vcc_lo
	v_mul_f32_e64 v7, v43, -v7
	v_cmp_eq_u32_e32 vcc_lo, 0x4c, v0
	global_store_dword v[1:2], v5, off
	global_store_dword v[3:4], v6, off
	v_exp_f32_e32 v3, v10
	s_waitcnt vmcnt(1)
	v_mul_f32_e32 v6, 0x3fb8aa3b, v51
	v_fma_f32 v4, -v43, v8, v42
	v_cndmask_b32_e32 v11, v7, v9, vcc_lo
	v_add_co_u32 v1, vcc_lo, s14, v44
	v_mul_f32_e64 v5, v43, -v8
	v_add_co_ci_u32_e64 v2, null, s15, v45, vcc_lo
	v_cmp_eq_u32_e32 vcc_lo, 0x4d, v0
	v_exp_f32_e32 v6, v6
	v_mul_f32_e64 v7, v43, -v3
	s_waitcnt vmcnt(0)
	v_mul_f32_e32 v8, 0x3fb8aa3b, v54
	v_cndmask_b32_e32 v12, v5, v4, vcc_lo
	v_fma_f32 v5, -v43, v3, v42
	v_add_co_u32 v3, vcc_lo, s14, v38
	v_add_co_ci_u32_e64 v4, null, s15, v39, vcc_lo
	v_cmp_eq_u32_e32 vcc_lo, 0x4e, v0
	v_exp_f32_e32 v8, v8
	v_mul_f32_e64 v9, v43, -v6
	v_cndmask_b32_e32 v13, v7, v5, vcc_lo
	v_add_co_u32 v5, vcc_lo, s14, v40
	v_fma_f32 v7, -v43, v6, v42
	v_add_co_ci_u32_e64 v6, null, s15, v41, vcc_lo
	v_cmp_eq_u32_e32 vcc_lo, 0x4f, v0
	v_mul_f32_e64 v10, v43, -v8
	v_cndmask_b32_e32 v14, v9, v7, vcc_lo
	v_add_co_u32 v7, vcc_lo, s14, v48
	v_fma_f32 v9, -v43, v8, v42
	v_add_co_ci_u32_e64 v8, null, s15, v49, vcc_lo
	v_cmp_eq_u32_e32 vcc_lo, 0x50, v0
	v_cndmask_b32_e32 v0, v10, v9, vcc_lo
	v_add_co_u32 v9, vcc_lo, s14, v46
	v_add_co_ci_u32_e64 v10, null, s15, v47, vcc_lo
	global_store_dword v[1:2], v11, off
	global_store_dword v[3:4], v12, off
	;; [unrolled: 1-line block ×5, first 2 shown]
.LBB1_4:
	s_endpgm
	.section	.rodata,"a",@progbits
	.p2align	6, 0x0
	.amdhsa_kernel _Z8loss_bwdIffEvPKT_PKT0_S5_PKlS2_S7_PS3_
		.amdhsa_group_segment_fixed_size 0
		.amdhsa_private_segment_fixed_size 0
		.amdhsa_kernarg_size 56
		.amdhsa_user_sgpr_count 6
		.amdhsa_user_sgpr_private_segment_buffer 1
		.amdhsa_user_sgpr_dispatch_ptr 0
		.amdhsa_user_sgpr_queue_ptr 0
		.amdhsa_user_sgpr_kernarg_segment_ptr 1
		.amdhsa_user_sgpr_dispatch_id 0
		.amdhsa_user_sgpr_flat_scratch_init 0
		.amdhsa_user_sgpr_private_segment_size 0
		.amdhsa_wavefront_size32 1
		.amdhsa_uses_dynamic_stack 0
		.amdhsa_system_sgpr_private_segment_wavefront_offset 0
		.amdhsa_system_sgpr_workgroup_id_x 1
		.amdhsa_system_sgpr_workgroup_id_y 1
		.amdhsa_system_sgpr_workgroup_id_z 0
		.amdhsa_system_sgpr_workgroup_info 0
		.amdhsa_system_vgpr_workitem_id 0
		.amdhsa_next_free_vgpr 64
		.amdhsa_next_free_sgpr 16
		.amdhsa_reserve_vcc 1
		.amdhsa_reserve_flat_scratch 0
		.amdhsa_float_round_mode_32 0
		.amdhsa_float_round_mode_16_64 0
		.amdhsa_float_denorm_mode_32 3
		.amdhsa_float_denorm_mode_16_64 3
		.amdhsa_dx10_clamp 1
		.amdhsa_ieee_mode 1
		.amdhsa_fp16_overflow 0
		.amdhsa_workgroup_processor_mode 1
		.amdhsa_memory_ordered 1
		.amdhsa_forward_progress 1
		.amdhsa_shared_vgpr_count 0
		.amdhsa_exception_fp_ieee_invalid_op 0
		.amdhsa_exception_fp_denorm_src 0
		.amdhsa_exception_fp_ieee_div_zero 0
		.amdhsa_exception_fp_ieee_overflow 0
		.amdhsa_exception_fp_ieee_underflow 0
		.amdhsa_exception_fp_ieee_inexact 0
		.amdhsa_exception_int_div_zero 0
	.end_amdhsa_kernel
	.section	.text._Z8loss_bwdIffEvPKT_PKT0_S5_PKlS2_S7_PS3_,"axG",@progbits,_Z8loss_bwdIffEvPKT_PKT0_S5_PKlS2_S7_PS3_,comdat
.Lfunc_end1:
	.size	_Z8loss_bwdIffEvPKT_PKT0_S5_PKlS2_S7_PS3_, .Lfunc_end1-_Z8loss_bwdIffEvPKT_PKT0_S5_PKlS2_S7_PS3_
                                        ; -- End function
	.set _Z8loss_bwdIffEvPKT_PKT0_S5_PKlS2_S7_PS3_.num_vgpr, 64
	.set _Z8loss_bwdIffEvPKT_PKT0_S5_PKlS2_S7_PS3_.num_agpr, 0
	.set _Z8loss_bwdIffEvPKT_PKT0_S5_PKlS2_S7_PS3_.numbered_sgpr, 16
	.set _Z8loss_bwdIffEvPKT_PKT0_S5_PKlS2_S7_PS3_.num_named_barrier, 0
	.set _Z8loss_bwdIffEvPKT_PKT0_S5_PKlS2_S7_PS3_.private_seg_size, 0
	.set _Z8loss_bwdIffEvPKT_PKT0_S5_PKlS2_S7_PS3_.uses_vcc, 1
	.set _Z8loss_bwdIffEvPKT_PKT0_S5_PKlS2_S7_PS3_.uses_flat_scratch, 0
	.set _Z8loss_bwdIffEvPKT_PKT0_S5_PKlS2_S7_PS3_.has_dyn_sized_stack, 0
	.set _Z8loss_bwdIffEvPKT_PKT0_S5_PKlS2_S7_PS3_.has_recursion, 0
	.set _Z8loss_bwdIffEvPKT_PKT0_S5_PKlS2_S7_PS3_.has_indirect_call, 0
	.section	.AMDGPU.csdata,"",@progbits
; Kernel info:
; codeLenInByte = 9128
; TotalNumSgprs: 18
; NumVgprs: 64
; ScratchSize: 0
; MemoryBound: 0
; FloatMode: 240
; IeeeMode: 1
; LDSByteSize: 0 bytes/workgroup (compile time only)
; SGPRBlocks: 0
; VGPRBlocks: 7
; NumSGPRsForWavesPerEU: 18
; NumVGPRsForWavesPerEU: 64
; Occupancy: 16
; WaveLimiterHint : 1
; COMPUTE_PGM_RSRC2:SCRATCH_EN: 0
; COMPUTE_PGM_RSRC2:USER_SGPR: 6
; COMPUTE_PGM_RSRC2:TRAP_HANDLER: 0
; COMPUTE_PGM_RSRC2:TGID_X_EN: 1
; COMPUTE_PGM_RSRC2:TGID_Y_EN: 1
; COMPUTE_PGM_RSRC2:TGID_Z_EN: 0
; COMPUTE_PGM_RSRC2:TIDIG_COMP_CNT: 0
	.section	.text._Z8loss_bwdIddEvPKT_PKT0_S5_PKlS2_S7_PS3_,"axG",@progbits,_Z8loss_bwdIddEvPKT_PKT0_S5_PKlS2_S7_PS3_,comdat
	.protected	_Z8loss_bwdIddEvPKT_PKT0_S5_PKlS2_S7_PS3_ ; -- Begin function _Z8loss_bwdIddEvPKT_PKT0_S5_PKlS2_S7_PS3_
	.globl	_Z8loss_bwdIddEvPKT_PKT0_S5_PKlS2_S7_PS3_
	.p2align	8
	.type	_Z8loss_bwdIddEvPKT_PKT0_S5_PKlS2_S7_PS3_,@function
_Z8loss_bwdIddEvPKT_PKT0_S5_PKlS2_S7_PS3_: ; @_Z8loss_bwdIddEvPKT_PKT0_S5_PKlS2_S7_PS3_
; %bb.0:
	v_lshl_add_u32 v0, s6, 6, v0
	s_mov_b32 s0, exec_lo
	v_cmpx_gt_i32_e32 0x221c, v0
	s_cbranch_execz .LBB2_4
; %bb.1:
	s_load_dwordx8 s[8:15], s[4:5], 0x18
	v_mad_u64_u32 v[2:3], null, 0x221c, s7, v[0:1]
	s_load_dwordx4 s[16:19], s[4:5], 0x0
	s_mov_b32 s0, exec_lo
	v_ashrrev_i32_e32 v3, 31, v2
	v_lshlrev_b64 v[5:6], 3, v[2:3]
	s_waitcnt lgkmcnt(0)
	v_add_co_u32 v0, vcc_lo, s12, v5
	v_add_co_ci_u32_e64 v1, null, s13, v6, vcc_lo
	v_add_co_u32 v3, vcc_lo, s8, v5
	v_add_co_ci_u32_e64 v4, null, s9, v6, vcc_lo
	;; [unrolled: 2-line block ×3, first 2 shown]
	global_load_dwordx2 v[7:8], v[0:1], off
	global_load_dwordx2 v[0:1], v[3:4], off
	;; [unrolled: 1-line block ×3, first 2 shown]
	s_waitcnt vmcnt(2)
	v_cmpx_ne_u64_e32 0, v[7:8]
	s_cbranch_execz .LBB2_3
; %bb.2:
	s_load_dwordx2 s[2:3], s[4:5], 0x10
	s_waitcnt lgkmcnt(0)
	v_add_co_u32 v7, vcc_lo, s2, v5
	v_add_co_ci_u32_e64 v8, null, s3, v6, vcc_lo
	global_load_dwordx2 v[7:8], v[7:8], off
	s_waitcnt vmcnt(0)
	v_add_f64 v[3:4], v[3:4], v[7:8]
.LBB2_3:
	s_or_b32 exec_lo, exec_lo, s0
	s_waitcnt vmcnt(0)
	v_mad_u64_u32 v[1:2], null, 0xaa8c0, s7, v[2:3]
	s_mov_b32 s12, 0xfefa39ef
	s_mov_b32 s13, 0xbfe62e42
	;; [unrolled: 1-line block ×6, first 2 shown]
	v_mad_u64_u32 v[7:8], null, 0x221c, v0, v[1:2]
	v_add_nc_u32_e32 v8, 0x6654, v1
	v_ashrrev_i32_e32 v2, 31, v1
	v_add_nc_u32_e32 v21, 0xaa8c, v1
	v_add_nc_u32_e32 v23, 0xcca8, v1
	;; [unrolled: 1-line block ×3, first 2 shown]
	v_ashrrev_i32_e32 v9, 31, v8
	v_lshlrev_b64 v[11:12], 3, v[1:2]
	v_ashrrev_i32_e32 v22, 31, v21
	v_ashrrev_i32_e32 v24, 31, v23
	;; [unrolled: 1-line block ×3, first 2 shown]
	v_lshlrev_b64 v[13:14], 3, v[8:9]
	s_mov_b32 s21, 0x3e928af3
	v_add_co_u32 v8, vcc_lo, s16, v11
	v_add_co_ci_u32_e64 v9, null, s17, v12, vcc_lo
	v_add_co_u32 v15, vcc_lo, s16, v13
	v_add_co_ci_u32_e64 v16, null, s17, v14, vcc_lo
	v_lshlrev_b64 v[21:22], 3, v[21:22]
	s_clause 0x1
	global_load_dwordx2 v[19:20], v[8:9], off
	global_load_dwordx2 v[17:18], v[15:16], off
	v_add_nc_u32_e32 v8, 0x8870, v1
	s_mov_b32 s23, 0x3e5ade15
	s_mov_b32 s24, 0x623fde64
	;; [unrolled: 1-line block ×4, first 2 shown]
	v_ashrrev_i32_e32 v9, 31, v8
	s_mov_b32 s27, 0x3efa0199
	s_mov_b32 s28, 0x14761f6e
	;; [unrolled: 1-line block ×4, first 2 shown]
	v_lshlrev_b64 v[9:10], 3, v[8:9]
	v_ashrrev_i32_e32 v8, 31, v7
	s_mov_b32 s31, 0x3f56c16c
	s_mov_b32 s34, 0x11122322
	;; [unrolled: 1-line block ×4, first 2 shown]
	v_add_co_u32 v15, vcc_lo, s16, v9
	v_add_co_ci_u32_e64 v16, null, s17, v10, vcc_lo
	v_add_co_u32 v25, vcc_lo, s16, v21
	v_add_co_ci_u32_e64 v26, null, s17, v22, vcc_lo
	global_load_dwordx2 v[15:16], v[15:16], off
	s_mov_b32 s37, 0x3fa55555
	s_mov_b32 s38, 0x55555511
	global_load_dwordx2 v[30:31], v[25:26], off
	v_lshlrev_b64 v[26:27], 3, v[23:24]
	s_mov_b32 s39, 0x3fc55555
	s_mov_b32 s40, 11
	;; [unrolled: 1-line block ×3, first 2 shown]
	v_add_nc_u32_e32 v73, 0x19950, v1
	v_add_co_u32 v23, vcc_lo, s16, v26
	v_add_co_ci_u32_e64 v24, null, s17, v27, vcc_lo
	v_add_co_u32 v5, vcc_lo, s10, v5
	v_add_co_ci_u32_e64 v6, null, s11, v6, vcc_lo
	global_load_dwordx2 v[28:29], v[23:24], off
	v_add_nc_u32_e32 v23, 0x221c, v1
	s_mov_b32 s10, 0x652b82fe
	global_load_dwordx2 v[42:43], v[5:6], off
	v_lshlrev_b64 v[5:6], 3, v[7:8]
	s_mov_b32 s11, 0x3ff71547
	v_ashrrev_i32_e32 v24, 31, v23
	v_ashrrev_i32_e32 v74, 31, v73
	v_lshlrev_b64 v[32:33], 3, v[23:24]
	v_lshlrev_b64 v[24:25], 3, v[34:35]
	v_add_co_u32 v7, vcc_lo, s16, v32
	v_add_co_ci_u32_e64 v8, null, s17, v33, vcc_lo
	v_add_co_u32 v34, vcc_lo, s16, v24
	v_add_co_ci_u32_e64 v35, null, s17, v25, vcc_lo
	v_add_co_u32 v5, vcc_lo, s16, v5
	v_add_co_ci_u32_e64 v6, null, s17, v6, vcc_lo
	s_clause 0x2
	global_load_dwordx2 v[36:37], v[7:8], off
	global_load_dwordx2 v[34:35], v[34:35], off
	;; [unrolled: 1-line block ×3, first 2 shown]
	s_waitcnt vmcnt(8)
	v_mul_f64 v[5:6], v[19:20], s[10:11]
	s_waitcnt vmcnt(7)
	v_mul_f64 v[7:8], v[17:18], s[10:11]
	v_cmp_nlt_f64_e64 s1, 0x40900000, v[17:18]
	v_cmp_ngt_f64_e64 s2, 0xc090cc00, v[17:18]
	v_cmp_ngt_f64_e64 s0, 0xc090cc00, v[19:20]
	v_rndne_f64_e32 v[46:47], v[5:6]
	v_rndne_f64_e32 v[48:49], v[7:8]
	v_add_nc_u32_e32 v7, 0xeec4, v1
	s_waitcnt vmcnt(6)
	v_mul_f64 v[5:6], v[15:16], s[10:11]
	s_waitcnt vmcnt(5)
	v_mul_f64 v[68:69], v[30:31], s[10:11]
	v_ashrrev_i32_e32 v8, 31, v7
	v_lshlrev_b64 v[40:41], 3, v[7:8]
	v_add_co_u32 v7, vcc_lo, s16, v40
	v_add_co_ci_u32_e64 v8, null, s17, v41, vcc_lo
	v_fma_f64 v[38:39], v[46:47], s[12:13], v[19:20]
	v_fma_f64 v[50:51], v[48:49], s[12:13], v[17:18]
	s_waitcnt vmcnt(4)
	v_mul_f64 v[70:71], v[28:29], s[10:11]
	v_rndne_f64_e32 v[52:53], v[5:6]
	s_waitcnt vmcnt(3)
	v_mul_f64 v[42:43], v[42:43], -v[3:4]
	v_cvt_i32_f64_e32 v4, v[46:47]
	v_rndne_f64_e32 v[68:69], v[68:69]
	v_cvt_i32_f64_e32 v23, v[48:49]
	global_load_dwordx2 v[7:8], v[7:8], off
	v_add_nc_u32_e32 v5, 0x110e0, v1
	v_ashrrev_i32_e32 v6, 31, v5
	v_lshlrev_b64 v[58:59], 3, v[5:6]
	v_fma_f64 v[54:55], v[46:47], s[18:19], v[38:39]
	v_fma_f64 v[50:51], v[48:49], s[18:19], v[50:51]
	v_rndne_f64_e32 v[70:71], v[70:71]
	v_fma_f64 v[38:39], v[52:53], s[12:13], v[15:16]
	v_add_co_u32 v5, vcc_lo, s16, v58
	v_add_co_ci_u32_e64 v6, null, s17, v59, vcc_lo
	s_waitcnt vmcnt(1)
	v_mul_f64 v[44:45], v[42:43], v[44:45]
	v_cvt_f32_f64_e32 v72, v[42:43]
	v_fma_f64 v[56:57], v[54:55], s[22:23], s[20:21]
	v_fma_f64 v[60:61], v[50:51], s[22:23], s[20:21]
	;; [unrolled: 1-line block ×5, first 2 shown]
	v_add_nc_u32_e32 v60, 0x132fc, v1
	v_fma_f64 v[64:65], v[62:63], s[22:23], s[20:21]
	v_ashrrev_i32_e32 v61, 31, v60
	v_lshlrev_b64 v[60:61], 3, v[60:61]
	v_fma_f64 v[66:67], v[54:55], v[38:39], s[26:27]
	v_fma_f64 v[56:57], v[50:51], v[56:57], s[26:27]
	v_add_co_u32 v38, vcc_lo, s16, v60
	v_fma_f64 v[64:65], v[62:63], v[64:65], s[24:25]
	v_add_co_ci_u32_e64 v39, null, s17, v61, vcc_lo
	v_cmp_nlt_f64_e32 vcc_lo, 0x40900000, v[19:20]
	global_load_dwordx2 v[38:39], v[38:39], off
	v_fma_f64 v[66:67], v[54:55], v[66:67], s[28:29]
	v_fma_f64 v[56:57], v[50:51], v[56:57], s[28:29]
	;; [unrolled: 1-line block ×18, first 2 shown]
	v_fma_f64 v[66:67], v[54:55], v[66:67], 1.0
	v_fma_f64 v[56:57], v[50:51], v[56:57], 1.0
	v_fma_f64 v[2:3], v[62:63], v[64:65], s[40:41]
	v_fma_f64 v[46:47], v[54:55], v[66:67], 1.0
	v_fma_f64 v[48:49], v[50:51], v[56:57], 1.0
	v_fma_f64 v[50:51], v[70:71], s[12:13], v[28:29]
	v_fma_f64 v[54:55], v[68:69], s[12:13], v[30:31]
	v_fma_f64 v[2:3], v[62:63], v[2:3], 1.0
	v_ldexp_f64 v[46:47], v[46:47], v4
	v_cvt_f32_f64_e32 v4, v[44:45]
	v_add_nc_u32_e32 v44, 0x15518, v1
	v_fma_f64 v[66:67], v[70:71], s[18:19], v[50:51]
	v_fma_f64 v[64:65], v[68:69], s[18:19], v[54:55]
	v_ldexp_f64 v[48:49], v[48:49], v23
	v_cvt_i32_f64_e32 v23, v[52:53]
	v_ashrrev_i32_e32 v45, 31, v44
	v_fma_f64 v[52:53], v[62:63], v[2:3], 1.0
	v_cvt_i32_f64_e32 v70, v[70:71]
	v_lshlrev_b64 v[50:51], 3, v[44:45]
	v_add_co_u32 v17, s3, s16, v50
	v_add_co_ci_u32_e64 v18, null, s17, v51, s3
	v_cndmask_b32_e32 v47, 0x7ff00000, v47, vcc_lo
	v_cvt_f64_f32_e32 v[2:3], v4
	s_and_b32 vcc_lo, s0, vcc_lo
	s_clause 0x1
	global_load_dwordx2 v[54:55], v[17:18], off
	global_load_dwordx2 v[5:6], v[5:6], off
	v_fma_f64 v[19:20], v[64:65], s[22:23], s[20:21]
	v_cndmask_b32_e64 v49, 0x7ff00000, v49, s1
	v_add_nc_u32_e32 v17, 0x17734, v1
	v_cndmask_b32_e32 v46, 0, v46, vcc_lo
	s_and_b32 vcc_lo, s2, s1
	v_ldexp_f64 v[52:53], v[52:53], v23
	v_cndmask_b32_e64 v47, 0, v47, s0
	v_ashrrev_i32_e32 v18, 31, v17
	v_cmp_ngt_f64_e64 s0, 0xc090cc00, v[15:16]
	v_fma_f64 v[44:45], v[66:67], s[22:23], s[20:21]
	v_mul_f64 v[46:47], v[46:47], v[2:3]
	v_fma_f64 v[56:57], v[64:65], v[19:20], s[24:25]
	v_cndmask_b32_e64 v20, 0, v49, s2
	v_cndmask_b32_e32 v19, 0, v48, vcc_lo
	v_cmp_nlt_f64_e32 vcc_lo, 0x40900000, v[15:16]
	s_waitcnt vmcnt(3)
	v_mul_f64 v[48:49], v[7:8], s[10:11]
	v_cmp_ngt_f64_e64 s2, 0xc090cc00, v[28:29]
	v_mul_f64 v[62:63], v[19:20], v[2:3]
	v_lshlrev_b64 v[18:19], 3, v[17:18]
	v_lshlrev_b64 v[16:17], 3, v[73:74]
	v_fma_f64 v[44:45], v[66:67], v[44:45], s[24:25]
	v_add_co_u32 v75, s1, s16, v18
	v_add_co_ci_u32_e64 v76, null, s17, v19, s1
	v_add_co_u32 v42, s1, s16, v16
	v_add_co_ci_u32_e64 v43, null, s17, v17, s1
	v_fma_f64 v[77:78], v[64:65], v[56:57], s[26:27]
	global_load_dwordx2 v[56:57], v[75:76], off
	v_cvt_f32_f64_e32 v15, v[46:47]
	v_cndmask_b32_e32 v4, 0x7ff00000, v53, vcc_lo
	s_and_b32 vcc_lo, s0, vcc_lo
	v_rndne_f64_e32 v[48:49], v[48:49]
	v_cvt_f32_f64_e32 v20, v[62:63]
	v_cndmask_b32_e32 v62, 0, v52, vcc_lo
	global_load_dwordx2 v[52:53], v[42:43], off
	v_cndmask_b32_e64 v63, 0, v4, s0
	v_add_co_u32 v11, vcc_lo, s14, v11
	v_add_co_ci_u32_e64 v12, null, s15, v12, vcc_lo
	v_mul_f64 v[62:63], v[62:63], v[2:3]
	v_add_co_u32 v13, vcc_lo, s14, v13
	v_add_co_ci_u32_e64 v14, null, s15, v14, vcc_lo
	v_cmp_eq_u32_e32 vcc_lo, 0, v0
	v_fma_f64 v[44:45], v[66:67], v[44:45], s[26:27]
	v_fma_f64 v[42:43], v[64:65], v[77:78], s[28:29]
	v_cmp_ngt_f64_e64 s0, 0xc090cc00, v[30:31]
	v_sub_f32_e32 v4, v72, v15
	v_fma_f64 v[73:74], v[48:49], s[12:13], v[7:8]
	v_cndmask_b32_e64 v4, -v15, v4, vcc_lo
	v_sub_f32_e32 v15, v72, v20
	v_cmp_eq_u32_e32 vcc_lo, 3, v0
	v_cvt_f64_f32_e32 v[75:76], v4
	v_cndmask_b32_e64 v15, -v20, v15, vcc_lo
	v_cvt_f32_f64_e32 v4, v[62:63]
	v_add_co_u32 v9, vcc_lo, s14, v9
	v_add_co_ci_u32_e64 v10, null, s15, v10, vcc_lo
	v_cmp_eq_u32_e32 vcc_lo, 4, v0
	v_fma_f64 v[44:45], v[66:67], v[44:45], s[28:29]
	v_fma_f64 v[42:43], v[64:65], v[42:43], s[30:31]
	;; [unrolled: 1-line block ×3, first 2 shown]
	global_store_dwordx2 v[11:12], v[75:76], off
	s_waitcnt vmcnt(4)
	v_mul_f64 v[11:12], v[38:39], s[10:11]
	v_fma_f64 v[44:45], v[66:67], v[44:45], s[30:31]
	v_fma_f64 v[42:43], v[64:65], v[42:43], s[34:35]
	v_rndne_f64_e32 v[75:76], v[11:12]
	v_fma_f64 v[11:12], v[66:67], v[44:45], s[34:35]
	v_fma_f64 v[42:43], v[64:65], v[42:43], s[36:37]
	;; [unrolled: 1-line block ×7, first 2 shown]
	v_fma_f64 v[42:43], v[64:65], v[42:43], 1.0
	v_fma_f64 v[11:12], v[66:67], v[11:12], 1.0
	;; [unrolled: 1-line block ×3, first 2 shown]
	v_add_nc_u32_e32 v42, 0x1bb6c, v1
	v_ashrrev_i32_e32 v43, 31, v42
	v_lshlrev_b64 v[42:43], 3, v[42:43]
	v_fma_f64 v[11:12], v[66:67], v[11:12], 1.0
	s_waitcnt vmcnt(3)
	v_mul_f64 v[66:67], v[54:55], s[10:11]
	s_waitcnt vmcnt(2)
	v_mul_f64 v[46:47], v[5:6], s[10:11]
	v_rndne_f64_e32 v[77:78], v[46:47]
	v_cvt_f64_f32_e32 v[46:47], v15
	v_sub_f32_e32 v15, v72, v4
	v_cndmask_b32_e64 v4, -v4, v15, vcc_lo
	v_add_co_u32 v20, vcc_lo, s14, v21
	v_add_co_ci_u32_e64 v21, null, s15, v22, vcc_lo
	v_cvt_f64_f32_e32 v[22:23], v4
	v_cvt_i32_f64_e32 v4, v[68:69]
	v_fma_f64 v[73:74], v[77:78], s[12:13], v[5:6]
	global_store_dwordx2 v[13:14], v[46:47], off
	v_fma_f64 v[13:14], v[62:63], s[22:23], s[20:21]
	v_add_co_u32 v46, vcc_lo, s16, v42
	v_add_co_ci_u32_e64 v47, null, s17, v43, vcc_lo
	v_cmp_nlt_f64_e32 vcc_lo, 0x40900000, v[30:31]
	global_load_dwordx2 v[46:47], v[46:47], off
	global_store_dwordx2 v[9:10], v[22:23], off
	v_fma_f64 v[9:10], v[75:76], s[12:13], v[38:39]
	v_ldexp_f64 v[64:65], v[64:65], v4
	v_fma_f64 v[73:74], v[77:78], s[18:19], v[73:74]
	v_fma_f64 v[13:14], v[62:63], v[13:14], s[24:25]
	;; [unrolled: 1-line block ×3, first 2 shown]
	v_cndmask_b32_e32 v4, 0x7ff00000, v65, vcc_lo
	v_cvt_i32_f64_e32 v65, v[48:49]
	s_waitcnt vmcnt(2)
	v_mul_f64 v[48:49], v[56:57], s[10:11]
	s_and_b32 vcc_lo, s0, vcc_lo
	v_cndmask_b32_e32 v64, 0, v64, vcc_lo
	v_cmp_nlt_f64_e32 vcc_lo, 0x40900000, v[7:8]
	v_fma_f64 v[22:23], v[73:74], s[22:23], s[20:21]
	v_fma_f64 v[13:14], v[62:63], v[13:14], s[26:27]
	;; [unrolled: 1-line block ×22, first 2 shown]
	v_fma_f64 v[13:14], v[62:63], v[13:14], 1.0
	v_fma_f64 v[44:45], v[9:10], v[44:45], s[38:39]
	v_fma_f64 v[22:23], v[73:74], v[22:23], s[40:41]
	v_fma_f64 v[14:15], v[62:63], v[13:14], 1.0
	v_add_nc_u32_e32 v62, 0x1dd88, v1
	v_ashrrev_i32_e32 v63, 31, v62
	v_fma_f64 v[30:31], v[9:10], v[44:45], s[40:41]
	v_fma_f64 v[68:69], v[73:74], v[22:23], 1.0
	v_lshlrev_b64 v[22:23], 3, v[62:63]
	v_rndne_f64_e32 v[62:63], v[66:67]
	v_ldexp_f64 v[66:67], v[11:12], v70
	v_ldexp_f64 v[14:15], v[14:15], v65
	v_cndmask_b32_e64 v65, 0, v4, s0
	v_cmp_ngt_f64_e64 s0, 0xc090cc00, v[7:8]
	v_add_co_u32 v11, s1, s16, v22
	v_add_co_ci_u32_e64 v12, null, s17, v23, s1
	v_cmp_nlt_f64_e64 s1, 0x40900000, v[28:29]
	v_cvt_i32_f64_e32 v4, v[77:78]
	global_load_dwordx2 v[12:13], v[11:12], off
	v_fma_f64 v[44:45], v[73:74], v[68:69], 1.0
	v_rndne_f64_e32 v[73:74], v[48:49]
	v_fma_f64 v[28:29], v[62:63], s[12:13], v[54:55]
	v_fma_f64 v[69:70], v[9:10], v[30:31], 1.0
	v_cndmask_b32_e32 v15, 0x7ff00000, v15, vcc_lo
	v_cvt_i32_f64_e32 v77, v[62:63]
	s_and_b32 vcc_lo, s0, vcc_lo
	v_cndmask_b32_e32 v14, 0, v14, vcc_lo
	v_cmp_nlt_f64_e32 vcc_lo, 0x40900000, v[5:6]
	v_cndmask_b32_e64 v15, 0, v15, s0
	v_cndmask_b32_e64 v11, 0x7ff00000, v67, s1
	s_waitcnt vmcnt(2)
	v_mul_f64 v[67:68], v[52:53], s[10:11]
	s_and_b32 s1, s2, s1
	v_cmp_ngt_f64_e64 s0, 0xc090cc00, v[5:6]
	v_mul_f64 v[14:15], v[14:15], v[2:3]
	v_ldexp_f64 v[44:45], v[44:45], v4
	v_fma_f64 v[48:49], v[73:74], s[12:13], v[56:57]
	v_fma_f64 v[79:80], v[62:63], s[18:19], v[28:29]
	v_mul_f64 v[28:29], v[64:65], v[2:3]
	v_fma_f64 v[9:10], v[9:10], v[69:70], 1.0
	v_rndne_f64_e32 v[30:31], v[67:68]
	v_fma_f64 v[68:69], v[73:74], s[18:19], v[48:49]
	v_fma_f64 v[7:8], v[79:80], s[22:23], s[20:21]
	v_cvt_f32_f64_e32 v67, v[28:29]
	v_cndmask_b32_e64 v28, 0, v66, s1
	v_cmp_eq_u32_e64 s1, 5, v0
	v_cndmask_b32_e64 v29, 0, v11, s2
	v_cvt_i32_f64_e32 v11, v[75:76]
	v_cmp_ngt_f64_e64 s2, 0xc090cc00, v[38:39]
	v_mul_f64 v[28:29], v[28:29], v[2:3]
	v_fma_f64 v[64:65], v[30:31], s[12:13], v[52:53]
	v_fma_f64 v[7:8], v[79:80], v[7:8], s[24:25]
	v_sub_f32_e32 v48, v72, v67
	v_ldexp_f64 v[9:10], v[9:10], v11
	v_cndmask_b32_e64 v4, -v67, v48, s1
	v_fma_f64 v[48:49], v[68:69], s[22:23], s[20:21]
	v_cndmask_b32_e32 v11, 0x7ff00000, v45, vcc_lo
	v_cvt_f32_f64_e32 v45, v[28:29]
	v_fma_f64 v[70:71], v[30:31], s[18:19], v[64:65]
	v_cvt_f64_f32_e32 v[64:65], v4
	v_cmp_nlt_f64_e64 s1, 0x40900000, v[38:39]
	s_and_b32 vcc_lo, s0, vcc_lo
	v_add_nc_u32_e32 v28, 0x243dc, v1
	v_ashrrev_i32_e32 v29, 31, v28
	v_fma_f64 v[7:8], v[79:80], v[7:8], s[26:27]
	v_fma_f64 v[48:49], v[68:69], v[48:49], s[24:25]
	v_sub_f32_e32 v38, v72, v45
	v_fma_f64 v[4:5], v[70:71], s[22:23], s[20:21]
	global_store_dwordx2 v[20:21], v[64:65], off
	v_cvt_f32_f64_e32 v64, v[14:15]
	v_add_nc_u32_e32 v20, 0x221c0, v1
	v_cndmask_b32_e32 v14, 0, v44, vcc_lo
	v_cmp_eq_u32_e32 vcc_lo, 6, v0
	v_cndmask_b32_e64 v15, 0, v11, s0
	v_cmp_ngt_f64_e64 s0, 0xc090cc00, v[54:55]
	v_ashrrev_i32_e32 v21, 31, v20
	v_cndmask_b32_e64 v65, -v45, v38, vcc_lo
	v_mul_f64 v[14:15], v[14:15], v[2:3]
	v_fma_f64 v[6:7], v[79:80], v[7:8], s[28:29]
	v_cndmask_b32_e64 v8, 0x7ff00000, v10, s1
	v_add_nc_u32_e32 v10, 0x1ffa4, v1
	s_and_b32 vcc_lo, s2, s1
	v_fma_f64 v[48:49], v[68:69], v[48:49], s[26:27]
	v_ashrrev_i32_e32 v11, 31, v10
	v_fma_f64 v[4:5], v[70:71], v[4:5], s[24:25]
	v_lshlrev_b64 v[38:39], 3, v[10:11]
	v_lshlrev_b64 v[10:11], 3, v[20:21]
	v_cvt_f64_f32_e32 v[20:21], v65
	v_sub_f32_e32 v65, v72, v64
	v_cvt_f32_f64_e32 v67, v[14:15]
	v_fma_f64 v[44:45], v[79:80], v[6:7], s[30:31]
	v_lshlrev_b64 v[6:7], 3, v[28:29]
	v_cndmask_b32_e64 v29, 0, v8, s2
	v_cndmask_b32_e32 v28, 0, v9, vcc_lo
	v_add_co_u32 v8, vcc_lo, s14, v26
	v_add_co_ci_u32_e64 v9, null, s15, v27, vcc_lo
	v_cmp_eq_u32_e32 vcc_lo, 7, v0
	v_mul_f64 v[28:29], v[28:29], v[2:3]
	v_fma_f64 v[26:27], v[68:69], v[48:49], s[28:29]
	v_fma_f64 v[4:5], v[70:71], v[4:5], s[26:27]
	v_cmp_ngt_f64_e64 s2, 0xc090cc00, v[56:57]
	v_cndmask_b32_e64 v66, -v64, v65, vcc_lo
	v_add_co_u32 v48, vcc_lo, s16, v38
	v_add_co_ci_u32_e64 v49, null, s17, v39, vcc_lo
	v_cvt_f64_f32_e32 v[14:15], v66
	global_store_dwordx2 v[8:9], v[20:21], off
	v_add_co_u32 v8, vcc_lo, s16, v10
	global_load_dwordx2 v[48:49], v[48:49], off
	v_add_co_ci_u32_e64 v9, null, s17, v11, vcc_lo
	v_fma_f64 v[64:65], v[79:80], v[44:45], s[34:35]
	v_add_co_u32 v20, vcc_lo, s14, v40
	global_load_dwordx2 v[44:45], v[8:9], off
	v_add_co_ci_u32_e64 v21, null, s15, v41, vcc_lo
	v_cvt_f32_f64_e32 v28, v[28:29]
	v_fma_f64 v[8:9], v[68:69], v[26:27], s[30:31]
	v_add_co_u32 v26, vcc_lo, s16, v6
	v_add_co_ci_u32_e64 v27, null, s17, v7, vcc_lo
	v_sub_f32_e32 v29, v72, v67
	v_cmp_eq_u32_e32 vcc_lo, 8, v0
	v_fma_f64 v[4:5], v[70:71], v[4:5], s[28:29]
	global_load_dwordx2 v[40:41], v[26:27], off
	global_store_dwordx2 v[20:21], v[14:15], off
	s_waitcnt vmcnt(4)
	v_mul_f64 v[14:15], v[46:47], s[10:11]
	v_cndmask_b32_e64 v20, -v67, v29, vcc_lo
	v_cmp_eq_u32_e32 vcc_lo, 9, v0
	v_fma_f64 v[26:27], v[79:80], v[64:65], s[36:37]
	v_cvt_f64_f32_e32 v[20:21], v20
	v_sub_f32_e32 v29, v72, v28
	v_fma_f64 v[8:9], v[68:69], v[8:9], s[34:35]
	v_cndmask_b32_e64 v28, -v28, v29, vcc_lo
	v_add_co_u32 v58, vcc_lo, s14, v58
	v_fma_f64 v[4:5], v[70:71], v[4:5], s[30:31]
	v_add_co_ci_u32_e64 v59, null, s15, v59, vcc_lo
	v_cvt_f64_f32_e32 v[64:65], v28
	v_rndne_f64_e32 v[28:29], v[14:15]
	v_mul_f64 v[14:15], v[36:37], s[10:11]
	v_fma_f64 v[26:27], v[79:80], v[26:27], s[38:39]
	global_store_dwordx2 v[58:59], v[20:21], off
	v_add_co_u32 v20, vcc_lo, s14, v60
	v_add_co_ci_u32_e64 v21, null, s15, v61, vcc_lo
	v_mul_f64 v[60:61], v[34:35], s[10:11]
	v_fma_f64 v[8:9], v[68:69], v[8:9], s[36:37]
	v_cmp_nlt_f64_e32 vcc_lo, 0x40900000, v[54:55]
	v_fma_f64 v[4:5], v[70:71], v[4:5], s[34:35]
	global_store_dwordx2 v[20:21], v[64:65], off
	v_fma_f64 v[64:65], v[28:29], s[12:13], v[46:47]
	v_rndne_f64_e32 v[58:59], v[14:15]
	v_fma_f64 v[26:27], v[79:80], v[26:27], s[40:41]
	v_rndne_f64_e32 v[20:21], v[60:61]
	v_fma_f64 v[8:9], v[68:69], v[8:9], s[38:39]
	v_fma_f64 v[4:5], v[70:71], v[4:5], s[36:37]
	;; [unrolled: 1-line block ×3, first 2 shown]
	v_cvt_i32_f64_e32 v78, v[58:59]
	v_fma_f64 v[14:15], v[79:80], v[26:27], 1.0
	v_fma_f64 v[26:27], v[58:59], s[12:13], v[36:37]
	v_fma_f64 v[62:63], v[20:21], s[12:13], v[34:35]
	;; [unrolled: 1-line block ×5, first 2 shown]
	v_fma_f64 v[14:15], v[79:80], v[14:15], 1.0
	v_fma_f64 v[60:61], v[58:59], s[18:19], v[26:27]
	v_fma_f64 v[64:65], v[20:21], s[18:19], v[62:63]
	v_fma_f64 v[8:9], v[68:69], v[8:9], 1.0
	v_fma_f64 v[4:5], v[70:71], v[4:5], s[40:41]
	v_fma_f64 v[26:27], v[66:67], v[75:76], s[24:25]
	v_cvt_i32_f64_e32 v75, v[73:74]
	v_fma_f64 v[62:63], v[60:61], s[22:23], s[20:21]
	v_fma_f64 v[8:9], v[68:69], v[8:9], 1.0
	v_ldexp_f64 v[68:69], v[14:15], v77
	v_fma_f64 v[14:15], v[64:65], s[22:23], s[20:21]
	v_cvt_i32_f64_e32 v77, v[28:29]
	v_fma_f64 v[4:5], v[70:71], v[4:5], 1.0
	v_fma_f64 v[26:27], v[66:67], v[26:27], s[26:27]
	v_fma_f64 v[62:63], v[60:61], v[62:63], s[24:25]
	v_ldexp_f64 v[75:76], v[8:9], v75
	v_cndmask_b32_e32 v69, 0x7ff00000, v69, vcc_lo
	v_fma_f64 v[73:74], v[64:65], v[14:15], s[24:25]
	s_and_b32 vcc_lo, s0, vcc_lo
	v_fma_f64 v[70:71], v[70:71], v[4:5], 1.0
	v_add_nc_u32_e32 v4, 0x265f8, v1
	v_fma_f64 v[26:27], v[66:67], v[26:27], s[28:29]
	v_ashrrev_i32_e32 v5, 31, v4
	v_fma_f64 v[54:55], v[60:61], v[62:63], s[26:27]
	v_lshlrev_b64 v[4:5], 3, v[4:5]
	v_add_co_u32 v8, s1, s16, v4
	v_fma_f64 v[62:63], v[64:65], v[73:74], s[26:27]
	v_add_co_ci_u32_e64 v9, null, s17, v5, s1
	v_cmp_nlt_f64_e64 s1, 0x40900000, v[56:57]
	v_cvt_i32_f64_e32 v73, v[30:31]
	v_add_nc_u32_e32 v30, 0x28814, v1
	global_load_dwordx2 v[14:15], v[8:9], off
	v_fma_f64 v[26:27], v[66:67], v[26:27], s[30:31]
	v_cndmask_b32_e64 v9, 0, v69, s0
	v_cndmask_b32_e32 v8, 0, v68, vcc_lo
	v_ashrrev_i32_e32 v31, 31, v30
	v_cmp_ngt_f64_e64 s0, 0xc090cc00, v[52:53]
	v_fma_f64 v[54:55], v[60:61], v[54:55], s[28:29]
	v_mul_f64 v[56:57], v[8:9], v[2:3]
	v_lshlrev_b64 v[8:9], 3, v[30:31]
	v_fma_f64 v[30:31], v[64:65], v[62:63], s[28:29]
	v_cndmask_b32_e64 v74, 0x7ff00000, v76, s1
	v_ldexp_f64 v[68:69], v[70:71], v73
	v_fma_f64 v[62:63], v[66:67], v[26:27], s[34:35]
	v_add_co_u32 v26, vcc_lo, s16, v8
	v_add_co_ci_u32_e64 v27, null, s17, v9, vcc_lo
	v_fma_f64 v[54:55], v[60:61], v[54:55], s[30:31]
	s_and_b32 vcc_lo, s2, s1
	v_cvt_f32_f64_e32 v70, v[56:57]
	v_cndmask_b32_e32 v56, 0, v75, vcc_lo
	v_cmp_nlt_f64_e32 vcc_lo, 0x40900000, v[52:53]
	s_waitcnt vmcnt(4)
	v_mul_f64 v[52:53], v[12:13], s[10:11]
	v_cndmask_b32_e64 v57, 0, v74, s2
	global_load_dwordx2 v[26:27], v[26:27], off
	v_cmp_eq_u32_e64 s1, 10, v0
	v_cmp_ngt_f64_e64 s2, 0xc090cc00, v[34:35]
	v_fma_f64 v[30:31], v[64:65], v[30:31], s[30:31]
	v_mul_f64 v[56:57], v[56:57], v[2:3]
	v_fma_f64 v[62:63], v[66:67], v[62:63], s[36:37]
	v_fma_f64 v[54:55], v[60:61], v[54:55], s[34:35]
	v_cndmask_b32_e32 v71, 0x7ff00000, v69, vcc_lo
	v_sub_f32_e32 v69, v72, v70
	s_and_b32 vcc_lo, s0, vcc_lo
	v_cndmask_b32_e64 v73, -v70, v69, s1
	v_fma_f64 v[30:31], v[64:65], v[30:31], s[34:35]
	v_cvt_f32_f64_e32 v75, v[56:57]
	v_add_nc_u32_e32 v56, 0x2aa30, v1
	v_cvt_f64_f32_e32 v[73:74], v73
	v_fma_f64 v[69:70], v[66:67], v[62:63], s[38:39]
	v_rndne_f64_e32 v[62:63], v[52:53]
	v_ashrrev_i32_e32 v57, 31, v56
	v_fma_f64 v[52:53], v[60:61], v[54:55], s[36:37]
	v_cndmask_b32_e32 v54, 0, v68, vcc_lo
	v_add_co_u32 v50, vcc_lo, s14, v50
	v_add_co_ci_u32_e64 v51, null, s15, v51, vcc_lo
	v_cndmask_b32_e64 v55, 0, v71, s0
	v_cmp_eq_u32_e32 vcc_lo, 11, v0
	v_cmp_ngt_f64_e64 s0, 0xc090cc00, v[46:47]
	v_fma_f64 v[30:31], v[64:65], v[30:31], s[36:37]
	v_mul_f64 v[54:55], v[54:55], v[2:3]
	global_store_dwordx2 v[50:51], v[73:74], off
	v_fma_f64 v[68:69], v[66:67], v[69:70], s[40:41]
	v_fma_f64 v[50:51], v[62:63], s[12:13], v[12:13]
	v_sub_f32_e32 v70, v72, v75
	v_fma_f64 v[52:53], v[60:61], v[52:53], s[38:39]
	v_cndmask_b32_e64 v73, -v75, v70, vcc_lo
	v_add_co_u32 v70, vcc_lo, s14, v18
	v_add_co_ci_u32_e64 v71, null, s15, v19, vcc_lo
	v_cvt_f64_f32_e32 v[73:74], v73
	v_lshlrev_b64 v[18:19], 3, v[56:57]
	v_fma_f64 v[56:57], v[64:65], v[30:31], s[38:39]
	v_cvt_f32_f64_e32 v54, v[54:55]
	v_add_co_u32 v30, vcc_lo, s16, v18
	v_add_co_ci_u32_e64 v31, null, s17, v19, vcc_lo
	v_fma_f64 v[75:76], v[66:67], v[68:69], 1.0
	v_fma_f64 v[68:69], v[62:63], s[18:19], v[50:51]
	v_add_co_u32 v16, vcc_lo, s14, v16
	v_fma_f64 v[50:51], v[60:61], v[52:53], s[40:41]
	global_load_dwordx2 v[30:31], v[30:31], off
	v_add_co_ci_u32_e64 v17, null, s15, v17, vcc_lo
	v_cmp_eq_u32_e32 vcc_lo, 12, v0
	global_store_dwordx2 v[70:71], v[73:74], off
	s_waitcnt vmcnt(5)
	v_mul_f64 v[52:53], v[48:49], s[10:11]
	v_fma_f64 v[56:57], v[64:65], v[56:57], s[40:41]
	v_sub_f32_e32 v55, v72, v54
	s_waitcnt vmcnt(4)
	v_mul_f64 v[70:71], v[44:45], s[10:11]
	v_cndmask_b32_e64 v79, -v54, v55, vcc_lo
	v_fma_f64 v[28:29], v[66:67], v[75:76], 1.0
	v_fma_f64 v[66:67], v[68:69], s[22:23], s[20:21]
	v_cmp_nlt_f64_e32 vcc_lo, 0x40900000, v[46:47]
	v_fma_f64 v[73:74], v[60:61], v[50:51], 1.0
	s_waitcnt vmcnt(3)
	v_mul_f64 v[58:59], v[40:41], s[10:11]
	v_rndne_f64_e32 v[54:55], v[52:53]
	v_fma_f64 v[56:57], v[64:65], v[56:57], 1.0
	v_rndne_f64_e32 v[52:53], v[70:71]
	v_ldexp_f64 v[75:76], v[28:29], v77
	v_cvt_f64_f32_e32 v[28:29], v79
	v_fma_f64 v[66:67], v[68:69], v[66:67], s[24:25]
	v_rndne_f64_e32 v[50:51], v[58:59]
	v_fma_f64 v[58:59], v[60:61], v[73:74], 1.0
	v_cvt_i32_f64_e32 v73, v[20:21]
	v_fma_f64 v[60:61], v[54:55], s[12:13], v[48:49]
	v_fma_f64 v[64:65], v[64:65], v[56:57], 1.0
	v_add_nc_u32_e32 v56, 0x2cc4c, v1
	v_ashrrev_i32_e32 v57, 31, v56
	v_cndmask_b32_e32 v74, 0x7ff00000, v76, vcc_lo
	global_store_dwordx2 v[16:17], v[28:29], off
	v_fma_f64 v[16:17], v[52:53], s[12:13], v[44:45]
	v_fma_f64 v[66:67], v[68:69], v[66:67], s[26:27]
	v_lshlrev_b64 v[20:21], 3, v[56:57]
	s_and_b32 vcc_lo, s0, vcc_lo
	v_fma_f64 v[70:71], v[50:51], s[12:13], v[40:41]
	v_ldexp_f64 v[46:47], v[58:59], v78
	v_add_co_u32 v28, s1, s16, v20
	v_fma_f64 v[56:57], v[54:55], s[18:19], v[60:61]
	v_add_co_ci_u32_e64 v29, null, s17, v21, s1
	v_ldexp_f64 v[60:61], v[64:65], v73
	v_add_co_u32 v64, s1, s14, v42
	v_add_co_ci_u32_e64 v65, null, s15, v43, s1
	v_cmp_nlt_f64_e64 s1, 0x40900000, v[34:35]
	global_load_dwordx2 v[28:29], v[28:29], off
	v_fma_f64 v[58:59], v[52:53], s[18:19], v[16:17]
	v_fma_f64 v[16:17], v[68:69], v[66:67], s[28:29]
	v_cndmask_b32_e64 v67, 0, v74, s0
	v_cndmask_b32_e32 v66, 0, v75, vcc_lo
	v_cmp_nlt_f64_e32 vcc_lo, 0x40900000, v[36:37]
	v_cmp_ngt_f64_e64 s0, 0xc090cc00, v[36:37]
	v_fma_f64 v[42:43], v[50:51], s[18:19], v[70:71]
	v_mul_f64 v[36:37], v[66:67], v[2:3]
	v_fma_f64 v[73:74], v[56:57], s[22:23], s[20:21]
	v_cndmask_b32_e64 v61, 0x7ff00000, v61, s1
	v_fma_f64 v[34:35], v[58:59], s[22:23], s[20:21]
	v_fma_f64 v[16:17], v[68:69], v[16:17], s[30:31]
	v_cndmask_b32_e32 v47, 0x7ff00000, v47, vcc_lo
	s_and_b32 vcc_lo, s0, vcc_lo
	v_cndmask_b32_e32 v46, 0, v46, vcc_lo
	v_cvt_f32_f64_e32 v70, v[36:37]
	v_fma_f64 v[36:37], v[42:43], s[22:23], s[20:21]
	v_fma_f64 v[66:67], v[56:57], v[73:74], s[24:25]
	v_cmp_eq_u32_e32 vcc_lo, 13, v0
	v_cndmask_b32_e64 v47, 0, v47, s0
	v_cmp_ngt_f64_e64 s0, 0xc090cc00, v[12:13]
	v_mul_f64 v[46:47], v[46:47], v[2:3]
	v_fma_f64 v[34:35], v[58:59], v[34:35], s[24:25]
	v_fma_f64 v[16:17], v[68:69], v[16:17], s[34:35]
	v_sub_f32_e32 v71, v72, v70
	v_fma_f64 v[36:37], v[42:43], v[36:37], s[24:25]
	v_fma_f64 v[66:67], v[56:57], v[66:67], s[26:27]
	v_cndmask_b32_e64 v73, -v70, v71, vcc_lo
	s_and_b32 vcc_lo, s2, s1
	v_cvt_f32_f64_e32 v75, v[46:47]
	v_fma_f64 v[34:35], v[58:59], v[34:35], s[26:27]
	v_fma_f64 v[70:71], v[68:69], v[16:17], s[36:37]
	v_cndmask_b32_e64 v17, 0, v61, s2
	v_cndmask_b32_e32 v16, 0, v60, vcc_lo
	v_cvt_f64_f32_e32 v[60:61], v73
	v_cmp_ngt_f64_e64 s2, 0xc090cc00, v[48:49]
	v_mul_f64 v[73:74], v[16:17], v[2:3]
	v_fma_f64 v[36:37], v[42:43], v[36:37], s[26:27]
	v_fma_f64 v[66:67], v[56:57], v[66:67], s[28:29]
	v_add_nc_u32_e32 v16, 0x2ee68, v1
	v_ashrrev_i32_e32 v17, 31, v16
	v_lshlrev_b64 v[16:17], 3, v[16:17]
	v_fma_f64 v[46:47], v[58:59], v[34:35], s[28:29]
	v_fma_f64 v[70:71], v[68:69], v[70:71], s[38:39]
	global_store_dwordx2 v[64:65], v[60:61], off
	v_add_co_u32 v34, vcc_lo, s16, v16
	v_add_co_ci_u32_e64 v35, null, s17, v17, vcc_lo
	v_cvt_f32_f64_e32 v73, v[73:74]
	v_fma_f64 v[60:61], v[56:57], v[66:67], s[30:31]
	v_fma_f64 v[36:37], v[42:43], v[36:37], s[28:29]
	v_add_co_u32 v32, vcc_lo, s14, v32
	v_add_co_ci_u32_e64 v33, null, s15, v33, vcc_lo
	v_add_co_u32 v24, vcc_lo, s14, v24
	v_add_co_ci_u32_e64 v25, null, s15, v25, vcc_lo
	v_sub_f32_e32 v74, v72, v75
	v_cmp_eq_u32_e32 vcc_lo, 1, v0
	v_fma_f64 v[46:47], v[58:59], v[46:47], s[30:31]
	v_fma_f64 v[66:67], v[68:69], v[70:71], s[40:41]
	global_load_dwordx2 v[34:35], v[34:35], off
	v_cndmask_b32_e64 v74, -v75, v74, vcc_lo
	v_cmp_eq_u32_e32 vcc_lo, 2, v0
	s_waitcnt vmcnt(4)
	v_mul_f64 v[64:65], v[14:15], s[10:11]
	v_sub_f32_e32 v75, v72, v73
	v_fma_f64 v[70:71], v[56:57], v[60:61], s[34:35]
	v_cndmask_b32_e64 v79, -v73, v75, vcc_lo
	v_cvt_f64_f32_e32 v[73:74], v74
	v_fma_f64 v[75:76], v[42:43], v[36:37], s[30:31]
	v_fma_f64 v[46:47], v[58:59], v[46:47], s[34:35]
	v_fma_f64 v[77:78], v[68:69], v[66:67], 1.0
	v_rndne_f64_e32 v[60:61], v[64:65]
	v_fma_f64 v[36:37], v[56:57], v[70:71], s[36:37]
	global_store_dwordx2 v[32:33], v[73:74], off
	v_cvt_i32_f64_e32 v73, v[62:63]
	v_cvt_f64_f32_e32 v[62:63], v79
	v_fma_f64 v[66:67], v[58:59], v[46:47], s[36:37]
	v_fma_f64 v[32:33], v[68:69], v[77:78], 1.0
	v_add_nc_u32_e32 v68, 0x31084, v1
	v_fma_f64 v[46:47], v[42:43], v[75:76], s[34:35]
	v_cvt_i32_f64_e32 v76, v[52:53]
	v_ashrrev_i32_e32 v69, 31, v68
	v_fma_f64 v[70:71], v[60:61], s[12:13], v[14:15]
	v_fma_f64 v[74:75], v[56:57], v[36:37], s[38:39]
	v_lshlrev_b64 v[36:37], 3, v[68:69]
	global_store_dwordx2 v[24:25], v[62:63], off
	v_add_co_u32 v24, vcc_lo, s16, v36
	v_add_co_ci_u32_e64 v25, null, s17, v37, vcc_lo
	v_fma_f64 v[66:67], v[58:59], v[66:67], s[38:39]
	v_ldexp_f64 v[32:33], v[32:33], v73
	v_cmp_nlt_f64_e32 vcc_lo, 0x40900000, v[12:13]
	v_fma_f64 v[62:63], v[42:43], v[46:47], s[36:37]
	global_load_dwordx2 v[46:47], v[24:25], off
	s_waitcnt vmcnt(4)
	v_mul_f64 v[64:65], v[26:27], s[10:11]
	v_add_nc_u32_e32 v12, 0x332a0, v1
	v_fma_f64 v[68:69], v[60:61], s[18:19], v[70:71]
	v_fma_f64 v[24:25], v[56:57], v[74:75], s[40:41]
	v_cvt_i32_f64_e32 v75, v[54:55]
	v_ashrrev_i32_e32 v13, 31, v12
	v_fma_f64 v[66:67], v[58:59], v[66:67], s[40:41]
	v_cndmask_b32_e32 v33, 0x7ff00000, v33, vcc_lo
	v_fma_f64 v[62:63], v[42:43], v[62:63], s[38:39]
	s_and_b32 vcc_lo, s0, vcc_lo
	v_rndne_f64_e32 v[64:65], v[64:65]
	v_cndmask_b32_e32 v32, 0, v32, vcc_lo
	v_cndmask_b32_e64 v33, 0, v33, s0
	v_fma_f64 v[70:71], v[68:69], s[22:23], s[20:21]
	v_cmp_nlt_f64_e32 vcc_lo, 0x40900000, v[44:45]
	v_fma_f64 v[24:25], v[56:57], v[24:25], 1.0
	v_cmp_ngt_f64_e64 s0, 0xc090cc00, v[44:45]
	v_mul_f64 v[32:33], v[32:33], v[2:3]
	v_fma_f64 v[66:67], v[58:59], v[66:67], 1.0
	v_fma_f64 v[62:63], v[42:43], v[62:63], s[40:41]
	v_fma_f64 v[54:55], v[64:65], s[12:13], v[26:27]
	v_fma_f64 v[24:25], v[56:57], v[24:25], 1.0
	s_waitcnt vmcnt(3)
	v_mul_f64 v[56:57], v[30:31], s[10:11]
	v_fma_f64 v[58:59], v[58:59], v[66:67], 1.0
	v_fma_f64 v[52:53], v[42:43], v[62:63], 1.0
	v_fma_f64 v[73:74], v[64:65], s[18:19], v[54:55]
	v_fma_f64 v[54:55], v[68:69], v[70:71], s[24:25]
	v_ldexp_f64 v[62:63], v[24:25], v75
	v_lshlrev_b64 v[24:25], 3, v[12:13]
	v_ldexp_f64 v[58:59], v[58:59], v76
	v_fma_f64 v[52:53], v[42:43], v[52:53], 1.0
	v_fma_f64 v[66:67], v[73:74], s[22:23], s[20:21]
	v_fma_f64 v[70:71], v[68:69], v[54:55], s[26:27]
	v_rndne_f64_e32 v[54:55], v[56:57]
	v_cndmask_b32_e32 v59, 0x7ff00000, v59, vcc_lo
	s_and_b32 vcc_lo, s0, vcc_lo
	v_fma_f64 v[12:13], v[73:74], v[66:67], s[24:25]
	v_fma_f64 v[56:57], v[68:69], v[70:71], s[28:29]
	v_add_co_u32 v66, s1, s16, v24
	v_add_co_ci_u32_e64 v67, null, s17, v25, s1
	v_cmp_nlt_f64_e64 s1, 0x40900000, v[48:49]
	v_fma_f64 v[48:49], v[54:55], s[12:13], v[30:31]
	v_cvt_i32_f64_e32 v70, v[50:51]
	global_load_dwordx2 v[42:43], v[66:67], off
	v_fma_f64 v[66:67], v[73:74], v[12:13], s[26:27]
	v_fma_f64 v[50:51], v[68:69], v[56:57], s[30:31]
	v_add_nc_u32_e32 v12, 0x354bc, v1
	v_cndmask_b32_e64 v63, 0x7ff00000, v63, s1
	v_ashrrev_i32_e32 v13, 31, v12
	v_fma_f64 v[56:57], v[54:55], s[18:19], v[48:49]
	s_and_b32 s1, s2, s1
	v_ldexp_f64 v[52:53], v[52:53], v70
	v_cndmask_b32_e64 v62, 0, v62, s1
	v_lshlrev_b64 v[12:13], 3, v[12:13]
	v_cvt_f32_f64_e32 v70, v[32:33]
	v_cndmask_b32_e64 v33, 0, v59, s0
	v_cndmask_b32_e32 v32, 0, v58, vcc_lo
	s_waitcnt vmcnt(3)
	v_mul_f64 v[58:59], v[28:29], s[10:11]
	v_cndmask_b32_e64 v63, 0, v63, s2
	v_add_co_u32 v44, s1, s16, v12
	v_add_co_ci_u32_e64 v45, null, s17, v13, s1
	v_add_co_u32 v22, s1, s14, v22
	v_fma_f64 v[48:49], v[68:69], v[50:51], s[34:35]
	global_load_dwordx2 v[44:45], v[44:45], off
	v_fma_f64 v[50:51], v[73:74], v[66:67], s[28:29]
	v_add_co_ci_u32_e64 v23, null, s15, v23, s1
	v_cmp_eq_u32_e64 s1, 14, v0
	v_fma_f64 v[66:67], v[56:57], s[22:23], s[20:21]
	v_cmp_nlt_f64_e32 vcc_lo, 0x40900000, v[40:41]
	v_cmp_ngt_f64_e64 s0, 0xc090cc00, v[40:41]
	v_mul_f64 v[62:63], v[62:63], v[2:3]
	v_mul_f64 v[32:33], v[32:33], v[2:3]
	v_sub_f32_e32 v71, v72, v70
	v_cmp_ngt_f64_e64 s2, 0xc090cc00, v[26:27]
	v_rndne_f64_e32 v[40:41], v[58:59]
	v_fma_f64 v[48:49], v[68:69], v[48:49], s[36:37]
	v_fma_f64 v[50:51], v[73:74], v[50:51], s[30:31]
	;; [unrolled: 1-line block ×3, first 2 shown]
	v_cndmask_b32_e64 v66, -v70, v71, s1
	v_cndmask_b32_e32 v53, 0x7ff00000, v53, vcc_lo
	v_cvt_f32_f64_e32 v70, v[62:63]
	v_cvt_f32_f64_e32 v71, v[32:33]
	s_and_b32 vcc_lo, s0, vcc_lo
	v_cvt_f64_f32_e32 v[66:67], v66
	v_cndmask_b32_e64 v53, 0, v53, s0
	v_fma_f64 v[62:63], v[40:41], s[12:13], v[28:29]
	v_cndmask_b32_e32 v52, 0, v52, vcc_lo
	v_cmp_ngt_f64_e64 s0, 0xc090cc00, v[14:15]
	v_cmp_eq_u32_e64 s1, 17, v0
	v_fma_f64 v[48:49], v[68:69], v[48:49], s[38:39]
	v_fma_f64 v[50:51], v[73:74], v[50:51], s[34:35]
	;; [unrolled: 1-line block ×3, first 2 shown]
	global_store_dwordx2 v[22:23], v[66:67], off
	v_add_nc_u32_e32 v22, 0x376d8, v1
	v_sub_f32_e32 v66, v72, v70
	v_ashrrev_i32_e32 v23, 31, v22
	v_fma_f64 v[32:33], v[68:69], v[48:49], s[40:41]
	v_lshlrev_b64 v[22:23], 3, v[22:23]
	v_fma_f64 v[48:49], v[73:74], v[50:51], s[36:37]
	v_mul_f64 v[50:51], v[52:53], v[2:3]
	v_fma_f64 v[52:53], v[40:41], s[18:19], v[62:63]
	v_add_co_u32 v62, vcc_lo, s14, v38
	v_add_co_ci_u32_e64 v63, null, s15, v39, vcc_lo
	v_fma_f64 v[38:39], v[56:57], v[58:59], s[28:29]
	v_add_co_u32 v58, vcc_lo, s16, v22
	v_add_co_ci_u32_e64 v59, null, s17, v23, vcc_lo
	v_cmp_eq_u32_e32 vcc_lo, 15, v0
	v_cndmask_b32_e64 v75, -v70, v66, vcc_lo
	v_sub_f32_e32 v70, v72, v71
	v_cmp_eq_u32_e32 vcc_lo, 16, v0
	v_fma_f64 v[66:67], v[68:69], v[32:33], 1.0
	global_load_dwordx2 v[32:33], v[58:59], off
	v_fma_f64 v[48:49], v[73:74], v[48:49], s[38:39]
	v_cvt_f32_f64_e32 v50, v[50:51]
	v_fma_f64 v[58:59], v[52:53], s[22:23], s[20:21]
	v_cndmask_b32_e64 v76, -v71, v70, vcc_lo
	v_cvt_i32_f64_e32 v51, v[60:61]
	v_cvt_f64_f32_e32 v[60:61], v75
	v_cvt_i32_f64_e32 v75, v[64:65]
	v_fma_f64 v[38:39], v[56:57], v[38:39], s[30:31]
	v_cvt_f64_f32_e32 v[64:65], v76
	v_add_co_u32 v10, vcc_lo, s14, v10
	v_add_co_ci_u32_e64 v11, null, s15, v11, vcc_lo
	v_fma_f64 v[66:67], v[68:69], v[66:67], 1.0
	s_waitcnt vmcnt(4)
	v_mul_f64 v[68:69], v[34:35], s[10:11]
	v_fma_f64 v[48:49], v[73:74], v[48:49], s[40:41]
	v_fma_f64 v[58:59], v[52:53], v[58:59], s[24:25]
	global_store_dwordx2 v[62:63], v[60:61], off
	v_add_nc_u32_e32 v62, 0x398f4, v1
	v_fma_f64 v[70:71], v[56:57], v[38:39], s[34:35]
	global_store_dwordx2 v[10:11], v[64:65], off
	v_ashrrev_i32_e32 v63, 31, v62
	v_lshlrev_b64 v[10:11], 3, v[62:63]
	v_ldexp_f64 v[66:67], v[66:67], v51
	v_rndne_f64_e32 v[38:39], v[68:69]
	v_fma_f64 v[48:49], v[73:74], v[48:49], 1.0
	v_sub_f32_e32 v51, v72, v50
	v_fma_f64 v[58:59], v[52:53], v[58:59], s[26:27]
	v_fma_f64 v[68:69], v[56:57], v[70:71], s[36:37]
	;; [unrolled: 1-line block ×3, first 2 shown]
	v_fma_f64 v[48:49], v[73:74], v[48:49], 1.0
	v_fma_f64 v[73:74], v[52:53], v[58:59], s[28:29]
	v_fma_f64 v[60:61], v[56:57], v[68:69], s[38:39]
	s_waitcnt vmcnt(3)
	v_mul_f64 v[62:63], v[46:47], s[10:11]
	v_fma_f64 v[58:59], v[38:39], s[18:19], v[70:71]
	v_add_co_u32 v70, vcc_lo, s14, v6
	v_fma_f64 v[64:65], v[52:53], v[73:74], s[30:31]
	v_add_co_ci_u32_e64 v71, null, s15, v7, vcc_lo
	v_add_co_u32 v6, vcc_lo, s16, v10
	v_add_co_ci_u32_e64 v7, null, s17, v11, vcc_lo
	v_add_nc_u32_e32 v73, 0x3bb10, v1
	v_ldexp_f64 v[68:69], v[48:49], v75
	v_cmp_nlt_f64_e32 vcc_lo, 0x40900000, v[14:15]
	global_load_dwordx2 v[48:49], v[6:7], off
	v_fma_f64 v[60:61], v[56:57], v[60:61], s[40:41]
	v_ashrrev_i32_e32 v74, 31, v73
	v_cndmask_b32_e64 v75, -v50, v51, s1
	v_cmp_nlt_f64_e64 s1, 0x40900000, v[26:27]
	v_rndne_f64_e32 v[62:63], v[62:63]
	v_lshlrev_b64 v[6:7], 3, v[73:74]
	v_cvt_i32_f64_e32 v73, v[54:55]
	v_fma_f64 v[14:15], v[58:59], s[22:23], s[20:21]
	v_fma_f64 v[64:65], v[52:53], v[64:65], s[34:35]
	v_add_co_u32 v26, s3, s16, v6
	v_add_co_ci_u32_e64 v27, null, s17, v7, s3
	global_load_dwordx2 v[50:51], v[26:27], off
	v_cndmask_b32_e32 v67, 0x7ff00000, v67, vcc_lo
	s_and_b32 vcc_lo, s0, vcc_lo
	v_fma_f64 v[60:61], v[56:57], v[60:61], 1.0
	v_cndmask_b32_e32 v54, 0, v66, vcc_lo
	v_cndmask_b32_e64 v55, 0, v67, s0
	v_cvt_f64_f32_e32 v[66:67], v75
	v_cndmask_b32_e64 v69, 0x7ff00000, v69, s1
	s_and_b32 vcc_lo, s2, s1
	v_cmp_ngt_f64_e64 s0, 0xc090cc00, v[30:31]
	v_fma_f64 v[14:15], v[58:59], v[14:15], s[24:25]
	v_mul_f64 v[54:55], v[54:55], v[2:3]
	v_fma_f64 v[26:27], v[52:53], v[64:65], s[36:37]
	v_fma_f64 v[56:57], v[56:57], v[60:61], 1.0
	v_fma_f64 v[60:61], v[62:63], s[12:13], v[46:47]
	global_store_dwordx2 v[70:71], v[66:67], off
	v_fma_f64 v[14:15], v[58:59], v[14:15], s[26:27]
	v_fma_f64 v[26:27], v[52:53], v[26:27], s[38:39]
	;; [unrolled: 1-line block ×3, first 2 shown]
	v_ldexp_f64 v[60:61], v[56:57], v73
	v_cndmask_b32_e64 v57, 0, v69, s2
	v_cndmask_b32_e32 v56, 0, v68, vcc_lo
	v_cvt_f32_f64_e32 v68, v[54:55]
	v_cmp_nlt_f64_e32 vcc_lo, 0x40900000, v[30:31]
	v_fma_f64 v[14:15], v[58:59], v[14:15], s[28:29]
	v_mul_f64 v[75:76], v[56:57], v[2:3]
	v_fma_f64 v[26:27], v[52:53], v[26:27], s[40:41]
	v_fma_f64 v[66:67], v[64:65], s[22:23], s[20:21]
	s_waitcnt vmcnt(4)
	v_mul_f64 v[69:70], v[42:43], s[10:11]
	v_cndmask_b32_e32 v61, 0x7ff00000, v61, vcc_lo
	s_and_b32 vcc_lo, s0, vcc_lo
	v_fma_f64 v[73:74], v[58:59], v[14:15], s[30:31]
	v_add_nc_u32_e32 v14, 0x3dd2c, v1
	v_fma_f64 v[26:27], v[52:53], v[26:27], 1.0
	v_ashrrev_i32_e32 v15, 31, v14
	v_lshlrev_b64 v[14:15], 3, v[14:15]
	v_fma_f64 v[30:31], v[64:65], v[66:67], s[24:25]
	v_add_co_u32 v54, s1, s16, v14
	v_add_co_ci_u32_e64 v55, null, s17, v15, s1
	v_rndne_f64_e32 v[56:57], v[69:70]
	v_fma_f64 v[66:67], v[58:59], v[73:74], s[34:35]
	v_cvt_f32_f64_e32 v73, v[75:76]
	global_load_dwordx2 v[54:55], v[54:55], off
	v_sub_f32_e32 v69, v72, v68
	v_cmp_eq_u32_e64 s1, 18, v0
	v_fma_f64 v[26:27], v[52:53], v[26:27], 1.0
	v_cvt_i32_f64_e32 v74, v[40:41]
	v_cndmask_b32_e64 v70, -v68, v69, s1
	v_cndmask_b32_e64 v69, 0, v61, s0
	v_cndmask_b32_e32 v68, 0, v60, vcc_lo
	s_waitcnt vmcnt(4)
	v_mul_f64 v[52:53], v[44:45], s[10:11]
	v_add_co_u32 v4, vcc_lo, s14, v4
	v_cvt_f64_f32_e32 v[60:61], v70
	v_fma_f64 v[30:31], v[64:65], v[30:31], s[26:27]
	v_add_co_ci_u32_e64 v5, null, s15, v5, vcc_lo
	v_cmp_eq_u32_e32 vcc_lo, 19, v0
	v_mul_f64 v[68:69], v[68:69], v[2:3]
	v_fma_f64 v[70:71], v[56:57], s[12:13], v[42:43]
	v_fma_f64 v[40:41], v[58:59], v[66:67], s[36:37]
	v_sub_f32_e32 v66, v72, v73
	v_cmp_ngt_f64_e64 s0, 0xc090cc00, v[28:29]
	v_add_co_u32 v20, s1, s14, v20
	v_add_co_ci_u32_e64 v21, null, s15, v21, s1
	v_cndmask_b32_e64 v66, -v73, v66, vcc_lo
	v_add_co_u32 v8, vcc_lo, s14, v8
	v_add_co_ci_u32_e64 v9, null, s15, v9, vcc_lo
	v_rndne_f64_e32 v[52:53], v[52:53]
	v_cvt_f64_f32_e32 v[66:67], v66
	v_cmp_ngt_f64_e64 s2, 0xc090cc00, v[44:45]
	global_store_dwordx2 v[4:5], v[60:61], off
	v_add_nc_u32_e32 v4, 0x3ff48, v1
	v_fma_f64 v[30:31], v[64:65], v[30:31], s[28:29]
	v_cvt_f32_f64_e32 v75, v[68:69]
	v_ashrrev_i32_e32 v5, 31, v4
	v_fma_f64 v[60:61], v[56:57], s[18:19], v[70:71]
	v_ldexp_f64 v[70:71], v[26:27], v74
	v_fma_f64 v[40:41], v[58:59], v[40:41], s[38:39]
	v_lshlrev_b64 v[26:27], 3, v[4:5]
	v_fma_f64 v[4:5], v[52:53], s[12:13], v[44:45]
	global_store_dwordx2 v[8:9], v[66:67], off
	v_add_co_u32 v8, vcc_lo, s16, v26
	v_add_co_ci_u32_e64 v9, null, s17, v27, vcc_lo
	v_fma_f64 v[66:67], v[64:65], v[30:31], s[30:31]
	v_cmp_nlt_f64_e32 vcc_lo, 0x40900000, v[28:29]
	global_load_dwordx2 v[30:31], v[8:9], off
	v_fma_f64 v[73:74], v[60:61], s[22:23], s[20:21]
	v_fma_f64 v[40:41], v[58:59], v[40:41], s[40:41]
	;; [unrolled: 1-line block ×4, first 2 shown]
	v_cndmask_b32_e32 v71, 0x7ff00000, v71, vcc_lo
	s_and_b32 vcc_lo, s0, vcc_lo
	v_cndmask_b32_e32 v66, 0, v70, vcc_lo
	v_cmp_eq_u32_e32 vcc_lo, 20, v0
	v_cndmask_b32_e64 v67, 0, v71, s0
	v_sub_f32_e32 v71, v72, v75
	v_fma_f64 v[28:29], v[60:61], v[73:74], s[24:25]
	v_fma_f64 v[40:41], v[58:59], v[40:41], 1.0
	v_cmp_ngt_f64_e64 s0, 0xc090cc00, v[34:35]
	v_cndmask_b32_e64 v75, -v75, v71, vcc_lo
	s_waitcnt vmcnt(4)
	v_mul_f64 v[68:69], v[32:33], s[10:11]
	v_fma_f64 v[70:71], v[8:9], s[22:23], s[20:21]
	v_fma_f64 v[73:74], v[64:65], v[4:5], s[36:37]
	;; [unrolled: 1-line block ×3, first 2 shown]
	v_fma_f64 v[58:59], v[58:59], v[40:41], 1.0
	v_cvt_f64_f32_e32 v[40:41], v75
	v_cvt_i32_f64_e32 v75, v[38:39]
	v_mul_f64 v[38:39], v[66:67], v[2:3]
	v_rndne_f64_e32 v[4:5], v[68:69]
	v_fma_f64 v[66:67], v[8:9], v[70:71], s[24:25]
	v_add_co_u32 v68, vcc_lo, s14, v18
	v_add_co_ci_u32_e64 v69, null, s15, v19, vcc_lo
	v_fma_f64 v[70:71], v[64:65], v[73:74], s[38:39]
	v_add_nc_u32_e32 v18, 0x42164, v1
	v_ashrrev_i32_e32 v19, 31, v18
	v_fma_f64 v[28:29], v[60:61], v[28:29], s[28:29]
	global_store_dwordx2 v[68:69], v[40:41], off
	v_lshlrev_b64 v[18:19], 3, v[18:19]
	v_cvt_f32_f64_e32 v73, v[38:39]
	v_ldexp_f64 v[58:59], v[58:59], v75
	v_fma_f64 v[68:69], v[4:5], s[12:13], v[32:33]
	v_fma_f64 v[66:67], v[8:9], v[66:67], s[26:27]
	v_add_co_u32 v40, vcc_lo, s16, v18
	v_add_co_ci_u32_e64 v41, null, s17, v19, vcc_lo
	v_fma_f64 v[38:39], v[64:65], v[70:71], s[40:41]
	v_cmp_eq_u32_e32 vcc_lo, 21, v0
	global_load_dwordx2 v[40:41], v[40:41], off
	v_fma_f64 v[70:71], v[60:61], v[28:29], s[30:31]
	v_fma_f64 v[28:29], v[4:5], s[18:19], v[68:69]
	v_fma_f64 v[66:67], v[8:9], v[66:67], s[28:29]
	v_sub_f32_e32 v68, v72, v73
	v_fma_f64 v[38:39], v[64:65], v[38:39], 1.0
	v_cndmask_b32_e64 v73, -v73, v68, vcc_lo
	v_cmp_nlt_f64_e32 vcc_lo, 0x40900000, v[34:35]
	v_fma_f64 v[68:69], v[60:61], v[70:71], s[34:35]
	v_cvt_f64_f32_e32 v[70:71], v73
	v_cvt_i32_f64_e32 v73, v[62:63]
	v_fma_f64 v[34:35], v[28:29], s[22:23], s[20:21]
	v_fma_f64 v[66:67], v[8:9], v[66:67], s[30:31]
	v_fma_f64 v[38:39], v[64:65], v[38:39], 1.0
	v_add_nc_u32_e32 v64, 0x44380, v1
	v_cndmask_b32_e32 v59, 0x7ff00000, v59, vcc_lo
	s_and_b32 vcc_lo, s0, vcc_lo
	v_cndmask_b32_e32 v58, 0, v58, vcc_lo
	v_ashrrev_i32_e32 v65, 31, v64
	v_cndmask_b32_e64 v59, 0, v59, s0
	v_fma_f64 v[62:63], v[60:61], v[68:69], s[36:37]
	global_store_dwordx2 v[20:21], v[70:71], off
	s_waitcnt vmcnt(4)
	v_mul_f64 v[68:69], v[48:49], s[10:11]
	v_lshlrev_b64 v[20:21], 3, v[64:65]
	v_mul_f64 v[58:59], v[58:59], v[2:3]
	v_cmp_nlt_f64_e32 vcc_lo, 0x40900000, v[46:47]
	v_cmp_ngt_f64_e64 s0, 0xc090cc00, v[46:47]
	v_fma_f64 v[64:65], v[28:29], v[34:35], s[24:25]
	v_fma_f64 v[66:67], v[8:9], v[66:67], s[34:35]
	v_add_co_u32 v34, s1, s16, v20
	v_add_co_ci_u32_e64 v35, null, s17, v21, s1
	v_ldexp_f64 v[38:39], v[38:39], v73
	s_waitcnt vmcnt(3)
	v_mul_f64 v[73:74], v[50:51], s[10:11]
	v_fma_f64 v[70:71], v[60:61], v[62:63], s[38:39]
	v_rndne_f64_e32 v[62:63], v[68:69]
	v_add_co_u32 v68, s1, s14, v16
	v_add_co_ci_u32_e64 v69, null, s15, v17, s1
	v_cvt_f32_f64_e32 v75, v[58:59]
	v_fma_f64 v[64:65], v[28:29], v[64:65], s[26:27]
	v_fma_f64 v[66:67], v[8:9], v[66:67], s[36:37]
	v_cndmask_b32_e32 v39, 0x7ff00000, v39, vcc_lo
	s_and_b32 vcc_lo, s0, vcc_lo
	v_cndmask_b32_e32 v38, 0, v38, vcc_lo
	v_cmp_eq_u32_e32 vcc_lo, 22, v0
	v_rndne_f64_e32 v[16:17], v[73:74]
	v_cndmask_b32_e64 v39, 0, v39, s0
	v_cmp_ngt_f64_e64 s0, 0xc090cc00, v[42:43]
	v_fma_f64 v[46:47], v[60:61], v[70:71], s[40:41]
	v_fma_f64 v[70:71], v[62:63], s[12:13], v[48:49]
	v_mul_f64 v[38:39], v[38:39], v[2:3]
	v_fma_f64 v[73:74], v[28:29], v[64:65], s[28:29]
	v_fma_f64 v[66:67], v[8:9], v[66:67], s[38:39]
	;; [unrolled: 1-line block ×3, first 2 shown]
	v_fma_f64 v[46:47], v[60:61], v[46:47], 1.0
	v_fma_f64 v[64:65], v[62:63], s[18:19], v[70:71]
	v_fma_f64 v[70:71], v[28:29], v[73:74], s[30:31]
	;; [unrolled: 1-line block ×3, first 2 shown]
	v_cvt_i32_f64_e32 v73, v[56:57]
	v_fma_f64 v[46:47], v[60:61], v[46:47], 1.0
	v_fma_f64 v[60:61], v[16:17], s[18:19], v[58:59]
	v_fma_f64 v[56:57], v[64:65], s[22:23], s[20:21]
	v_fma_f64 v[58:59], v[28:29], v[70:71], s[34:35]
	v_fma_f64 v[66:67], v[8:9], v[66:67], 1.0
	v_sub_f32_e32 v70, v72, v75
	v_cndmask_b32_e64 v74, -v75, v70, vcc_lo
	v_cvt_i32_f64_e32 v75, v[52:53]
	v_cmp_nlt_f64_e32 vcc_lo, 0x40900000, v[42:43]
	v_add_co_u32 v42, s1, s14, v36
	v_cvt_f64_f32_e32 v[52:53], v74
	v_add_co_ci_u32_e64 v43, null, s15, v37, s1
	v_ldexp_f64 v[70:71], v[46:47], v73
	v_fma_f64 v[46:47], v[60:61], s[22:23], s[20:21]
	v_fma_f64 v[56:57], v[64:65], v[56:57], s[24:25]
	;; [unrolled: 1-line block ×3, first 2 shown]
	v_fma_f64 v[8:9], v[8:9], v[66:67], 1.0
	s_waitcnt vmcnt(2)
	v_mul_f64 v[66:67], v[54:55], s[10:11]
	global_store_dwordx2 v[68:69], v[52:53], off
	v_add_nc_u32_e32 v52, 0x4659c, v1
	v_cndmask_b32_e32 v71, 0x7ff00000, v71, vcc_lo
	v_fma_f64 v[73:74], v[60:61], v[46:47], s[24:25]
	s_and_b32 vcc_lo, s0, vcc_lo
	v_ashrrev_i32_e32 v53, 31, v52
	v_fma_f64 v[56:57], v[64:65], v[56:57], s[26:27]
	v_fma_f64 v[58:59], v[28:29], v[58:59], s[38:39]
	v_rndne_f64_e32 v[46:47], v[66:67]
	v_ldexp_f64 v[66:67], v[8:9], v75
	v_lshlrev_b64 v[8:9], 3, v[52:53]
	v_cvt_f32_f64_e32 v75, v[38:39]
	v_fma_f64 v[68:69], v[60:61], v[73:74], s[26:27]
	v_fma_f64 v[56:57], v[64:65], v[56:57], s[28:29]
	;; [unrolled: 1-line block ×3, first 2 shown]
	v_add_co_u32 v58, s1, s16, v8
	v_fma_f64 v[52:53], v[46:47], s[12:13], v[54:55]
	v_add_co_ci_u32_e64 v59, null, s17, v9, s1
	v_cmp_nlt_f64_e64 s1, 0x40900000, v[44:45]
	v_cndmask_b32_e32 v44, 0, v70, vcc_lo
	v_cmp_eq_u32_e32 vcc_lo, 23, v0
	global_load_dwordx2 v[38:39], v[58:59], off
	v_cndmask_b32_e64 v45, 0, v71, s0
	v_cmp_ngt_f64_e64 s0, 0xc090cc00, v[32:33]
	v_mul_f64 v[44:45], v[44:45], v[2:3]
	v_fma_f64 v[56:57], v[64:65], v[56:57], s[30:31]
	v_fma_f64 v[73:74], v[28:29], v[36:37], 1.0
	v_sub_f32_e32 v36, v72, v75
	v_fma_f64 v[58:59], v[46:47], s[18:19], v[52:53]
	v_cndmask_b32_e64 v76, 0x7ff00000, v67, s1
	v_fma_f64 v[67:68], v[60:61], v[68:69], s[28:29]
	s_waitcnt vmcnt(2)
	v_mul_f64 v[69:70], v[30:31], s[10:11]
	v_cndmask_b32_e64 v36, -v75, v36, vcc_lo
	s_and_b32 vcc_lo, s2, s1
	v_cmp_eq_u32_e64 s1, 24, v0
	v_cndmask_b32_e32 v66, 0, v66, vcc_lo
	v_fma_f64 v[56:57], v[64:65], v[56:57], s[34:35]
	v_fma_f64 v[28:29], v[28:29], v[73:74], 1.0
	v_cvt_i32_f64_e32 v73, v[4:5]
	v_cvt_f32_f64_e32 v74, v[44:45]
	v_add_nc_u32_e32 v4, 0x487b8, v1
	v_fma_f64 v[52:53], v[60:61], v[67:68], s[30:31]
	v_cndmask_b32_e64 v67, 0, v76, s2
	v_cvt_f64_f32_e32 v[75:76], v36
	v_rndne_f64_e32 v[36:37], v[69:70]
	v_fma_f64 v[68:69], v[58:59], s[22:23], s[20:21]
	v_ashrrev_i32_e32 v5, 31, v4
	v_mul_f64 v[66:67], v[66:67], v[2:3]
	v_cmp_ngt_f64_e64 s2, 0xc090cc00, v[50:51]
	v_lshlrev_b64 v[4:5], 3, v[4:5]
	v_fma_f64 v[56:57], v[64:65], v[56:57], s[36:37]
	v_ldexp_f64 v[28:29], v[28:29], v73
	v_fma_f64 v[70:71], v[60:61], v[52:53], s[34:35]
	v_add_co_u32 v52, vcc_lo, s16, v4
	global_store_dwordx2 v[42:43], v[75:76], off
	v_fma_f64 v[42:43], v[36:37], s[12:13], v[30:31]
	v_fma_f64 v[44:45], v[58:59], v[68:69], s[24:25]
	v_cvt_f32_f64_e32 v73, v[66:67]
	v_add_co_ci_u32_e64 v53, null, s17, v5, vcc_lo
	v_add_co_u32 v24, vcc_lo, s14, v24
	v_add_co_ci_u32_e64 v25, null, s15, v25, vcc_lo
	v_cmp_nlt_f64_e32 vcc_lo, 0x40900000, v[32:33]
	v_cvt_i32_f64_e32 v75, v[16:17]
	global_load_dwordx2 v[52:53], v[52:53], off
	v_fma_f64 v[56:57], v[64:65], v[56:57], s[38:39]
	v_fma_f64 v[68:69], v[60:61], v[70:71], s[36:37]
	v_sub_f32_e32 v70, v72, v74
	v_fma_f64 v[66:67], v[36:37], s[18:19], v[42:43]
	v_fma_f64 v[42:43], v[58:59], v[44:45], s[26:27]
	v_cndmask_b32_e64 v70, -v74, v70, s1
	v_cvt_i32_f64_e32 v74, v[62:63]
	v_sub_f32_e32 v71, v72, v73
	v_cmp_eq_u32_e64 s1, 25, v0
	v_cvt_f64_f32_e32 v[62:63], v70
	v_add_nc_u32_e32 v70, 0x4a9d4, v1
	v_cndmask_b32_e32 v29, 0x7ff00000, v29, vcc_lo
	v_cndmask_b32_e64 v73, -v73, v71, s1
	s_and_b32 vcc_lo, s0, vcc_lo
	v_fma_f64 v[44:45], v[64:65], v[56:57], s[40:41]
	v_ashrrev_i32_e32 v71, 31, v70
	v_cmp_nlt_f64_e64 s1, 0x40900000, v[50:51]
	v_fma_f64 v[32:33], v[60:61], v[68:69], s[38:39]
	v_lshlrev_b64 v[16:17], 3, v[70:71]
	v_fma_f64 v[68:69], v[66:67], s[22:23], s[20:21]
	v_fma_f64 v[42:43], v[58:59], v[42:43], s[28:29]
	global_store_dwordx2 v[24:25], v[62:63], off
	v_fma_f64 v[44:45], v[64:65], v[44:45], 1.0
	v_fma_f64 v[32:33], v[60:61], v[32:33], s[40:41]
	v_fma_f64 v[68:69], v[66:67], v[68:69], s[24:25]
	;; [unrolled: 1-line block ×3, first 2 shown]
	v_fma_f64 v[44:45], v[64:65], v[44:45], 1.0
	v_fma_f64 v[32:33], v[60:61], v[32:33], 1.0
	v_fma_f64 v[68:69], v[66:67], v[68:69], s[26:27]
	v_fma_f64 v[42:43], v[58:59], v[42:43], s[34:35]
	v_ldexp_f64 v[70:71], v[44:45], v74
	v_fma_f64 v[32:33], v[60:61], v[32:33], 1.0
	v_fma_f64 v[24:25], v[66:67], v[68:69], s[28:29]
	v_cndmask_b32_e64 v69, 0, v29, s0
	v_cndmask_b32_e32 v68, 0, v28, vcc_lo
	v_fma_f64 v[28:29], v[58:59], v[42:43], s[36:37]
	v_add_co_u32 v42, vcc_lo, s16, v16
	v_add_co_ci_u32_e64 v43, null, s17, v17, vcc_lo
	v_add_co_u32 v44, vcc_lo, s14, v12
	v_add_co_ci_u32_e64 v45, null, s15, v13, vcc_lo
	s_clause 0x1
	global_load_dwordx2 v[42:43], v[42:43], off
	global_load_dwordx2 v[34:35], v[34:35], off
	s_waitcnt vmcnt(4)
	v_mul_f64 v[56:57], v[40:41], s[10:11]
	v_cmp_ngt_f64_e64 s0, 0xc090cc00, v[48:49]
	v_ldexp_f64 v[32:33], v[32:33], v75
	v_cvt_i32_f64_e32 v75, v[46:47]
	v_fma_f64 v[24:25], v[66:67], v[24:25], s[30:31]
	v_rndne_f64_e32 v[56:57], v[56:57]
	v_cndmask_b32_e64 v33, 0x7ff00000, v33, s1
	v_fma_f64 v[24:25], v[66:67], v[24:25], s[34:35]
	v_fma_f64 v[64:65], v[56:57], s[12:13], v[40:41]
	;; [unrolled: 1-line block ×4, first 2 shown]
	v_cvt_f64_f32_e32 v[64:65], v73
	v_fma_f64 v[24:25], v[66:67], v[24:25], s[38:39]
	v_fma_f64 v[73:74], v[60:61], s[22:23], s[20:21]
	global_store_dwordx2 v[44:45], v[64:65], off
	v_fma_f64 v[44:45], v[58:59], v[28:29], s[38:39]
	v_add_nc_u32_e32 v28, 0x4cbf0, v1
	v_ashrrev_i32_e32 v29, 31, v28
	v_fma_f64 v[24:25], v[66:67], v[24:25], s[40:41]
	v_lshlrev_b64 v[28:29], 3, v[28:29]
	v_add_co_u32 v50, s3, s16, v28
	v_add_co_ci_u32_e64 v51, null, s17, v29, s3
	v_fma_f64 v[24:25], v[66:67], v[24:25], 1.0
	v_fma_f64 v[66:67], v[66:67], v[24:25], 1.0
	v_add_nc_u32_e32 v24, 0x51028, v1
	v_ashrrev_i32_e32 v25, 31, v24
	v_lshlrev_b64 v[24:25], 3, v[24:25]
	s_waitcnt vmcnt(0)
	v_mul_f64 v[62:63], v[34:35], s[10:11]
	v_rndne_f64_e32 v[12:13], v[62:63]
	v_add_co_u32 v62, vcc_lo, s14, v22
	v_add_co_ci_u32_e64 v63, null, s15, v23, vcc_lo
	v_fma_f64 v[22:23], v[60:61], v[73:74], s[24:25]
	v_cmp_nlt_f64_e32 vcc_lo, 0x40900000, v[48:49]
	v_fma_f64 v[73:74], v[58:59], v[44:45], s[40:41]
	global_load_dwordx2 v[44:45], v[50:51], off
	v_fma_f64 v[48:49], v[12:13], s[12:13], v[34:35]
	v_fma_f64 v[22:23], v[60:61], v[22:23], s[26:27]
	v_cndmask_b32_e32 v71, 0x7ff00000, v71, vcc_lo
	s_and_b32 vcc_lo, s0, vcc_lo
	v_cndmask_b32_e32 v50, 0, v70, vcc_lo
	s_and_b32 vcc_lo, s2, s1
	v_cndmask_b32_e64 v51, 0, v71, s0
	v_cmp_ngt_f64_e64 s0, 0xc090cc00, v[54:55]
	v_fma_f64 v[64:65], v[12:13], s[18:19], v[48:49]
	v_fma_f64 v[48:49], v[58:59], v[73:74], 1.0
	v_cndmask_b32_e32 v73, 0, v32, vcc_lo
	v_cndmask_b32_e64 v74, 0, v33, s2
	v_cmp_ngt_f64_e64 s2, 0xc090cc00, v[34:35]
	v_fma_f64 v[22:23], v[60:61], v[22:23], s[28:29]
	v_fma_f64 v[70:71], v[64:65], s[22:23], s[20:21]
	v_fma_f64 v[48:49], v[58:59], v[48:49], 1.0
	v_add_nc_u32_e32 v58, 0x4ee0c, v1
	v_fma_f64 v[46:47], v[60:61], v[22:23], s[30:31]
	v_ashrrev_i32_e32 v59, 31, v58
	v_lshlrev_b64 v[22:23], 3, v[58:59]
	v_add_co_u32 v32, vcc_lo, s16, v22
	v_add_co_ci_u32_e64 v33, null, s17, v23, vcc_lo
	v_fma_f64 v[58:59], v[64:65], v[70:71], s[24:25]
	v_ldexp_f64 v[70:71], v[48:49], v75
	v_cmp_nlt_f64_e32 vcc_lo, 0x40900000, v[54:55]
	global_load_dwordx2 v[32:33], v[32:33], off
	v_mul_f64 v[54:55], v[38:39], s[10:11]
	v_fma_f64 v[46:47], v[60:61], v[46:47], s[34:35]
	v_mul_f64 v[75:76], v[50:51], v[2:3]
	v_fma_f64 v[48:49], v[64:65], v[58:59], s[26:27]
	v_mul_f64 v[58:59], v[68:69], v[2:3]
	v_cndmask_b32_e32 v71, 0x7ff00000, v71, vcc_lo
	s_and_b32 vcc_lo, s0, vcc_lo
	v_fma_f64 v[46:47], v[60:61], v[46:47], s[36:37]
	v_fma_f64 v[68:69], v[64:65], v[48:49], s[28:29]
	v_cvt_f32_f64_e32 v77, v[58:59]
	v_cvt_i32_f64_e32 v58, v[36:37]
	v_rndne_f64_e32 v[48:49], v[54:55]
	v_cndmask_b32_e64 v59, 0, v71, s0
	v_fma_f64 v[36:37], v[60:61], v[46:47], s[38:39]
	v_add_co_u32 v46, s1, s16, v24
	v_add_co_ci_u32_e64 v47, null, s17, v25, s1
	v_cmp_ngt_f64_e64 s0, 0xc090cc00, v[30:31]
	v_add_co_u32 v10, s1, s14, v10
	global_load_dwordx2 v[50:51], v[46:47], off
	v_add_co_ci_u32_e64 v11, null, s15, v11, s1
	v_fma_f64 v[54:55], v[64:65], v[68:69], s[30:31]
	v_cvt_f32_f64_e32 v68, v[75:76]
	v_ldexp_f64 v[66:67], v[66:67], v58
	v_fma_f64 v[46:47], v[48:49], s[12:13], v[38:39]
	v_cndmask_b32_e32 v58, 0, v70, vcc_lo
	v_fma_f64 v[36:37], v[60:61], v[36:37], s[40:41]
	v_sub_f32_e32 v69, v72, v77
	v_cmp_eq_u32_e32 vcc_lo, 26, v0
	v_cndmask_b32_e64 v71, -v77, v69, vcc_lo
	v_cmp_eq_u32_e32 vcc_lo, 27, v0
	v_cvt_i32_f64_e32 v77, v[12:13]
	v_cvt_f64_f32_e32 v[12:13], v71
	v_fma_f64 v[54:55], v[64:65], v[54:55], s[34:35]
	v_sub_f32_e32 v69, v72, v68
	v_cndmask_b32_e64 v75, -v68, v69, vcc_lo
	v_cmp_nlt_f64_e32 vcc_lo, 0x40900000, v[30:31]
	v_fma_f64 v[30:31], v[60:61], v[36:37], 1.0
	v_fma_f64 v[36:37], v[48:49], s[18:19], v[46:47]
	global_store_dwordx2 v[62:63], v[12:13], off
	v_mul_f64 v[12:13], v[42:43], s[10:11]
	v_fma_f64 v[46:47], v[64:65], v[54:55], s[36:37]
	v_mul_f64 v[54:55], v[52:53], s[10:11]
	v_cndmask_b32_e32 v76, 0x7ff00000, v67, vcc_lo
	v_fma_f64 v[30:31], v[60:61], v[30:31], 1.0
	v_fma_f64 v[60:61], v[36:37], s[22:23], s[20:21]
	v_mul_f64 v[67:68], v[73:74], v[2:3]
	s_and_b32 vcc_lo, s0, vcc_lo
	v_cndmask_b32_e64 v63, 0, v76, s0
	v_cndmask_b32_e32 v62, 0, v66, vcc_lo
	v_mul_f64 v[73:74], v[58:59], v[2:3]
	v_cmp_nlt_f64_e32 vcc_lo, 0x40900000, v[40:41]
	v_cmp_ngt_f64_e64 s0, 0xc090cc00, v[40:41]
	v_mul_f64 v[62:63], v[62:63], v[2:3]
	v_fma_f64 v[69:70], v[64:65], v[46:47], s[38:39]
	v_rndne_f64_e32 v[54:55], v[54:55]
	v_cvt_i32_f64_e32 v47, v[56:57]
	v_fma_f64 v[56:57], v[36:37], v[60:61], s[24:25]
	v_cvt_f32_f64_e32 v46, v[67:68]
	v_cvt_f32_f64_e32 v71, v[73:74]
	v_fma_f64 v[60:61], v[64:65], v[69:70], s[40:41]
	v_fma_f64 v[67:68], v[54:55], s[12:13], v[52:53]
	;; [unrolled: 1-line block ×3, first 2 shown]
	v_sub_f32_e32 v73, v72, v71
	v_fma_f64 v[69:70], v[64:65], v[60:61], 1.0
	v_fma_f64 v[60:61], v[54:55], s[18:19], v[67:68]
	v_fma_f64 v[67:68], v[36:37], v[56:57], s[28:29]
	v_ldexp_f64 v[56:57], v[30:31], v47
	v_cvt_f64_f32_e32 v[30:31], v75
	v_sub_f32_e32 v47, v72, v46
	v_fma_f64 v[64:65], v[64:65], v[69:70], 1.0
	v_fma_f64 v[69:70], v[60:61], s[22:23], s[20:21]
	v_fma_f64 v[67:68], v[36:37], v[67:68], s[30:31]
	v_cndmask_b32_e32 v57, 0x7ff00000, v57, vcc_lo
	global_store_dwordx2 v[10:11], v[30:31], off
	v_rndne_f64_e32 v[10:11], v[12:13]
	s_and_b32 vcc_lo, s0, vcc_lo
	v_cndmask_b32_e64 v57, 0, v57, s0
	v_cndmask_b32_e32 v56, 0, v56, vcc_lo
	v_cmp_ngt_f64_e64 s0, 0xc090cc00, v[38:39]
	v_mul_f64 v[56:57], v[56:57], v[2:3]
	v_ldexp_f64 v[58:59], v[64:65], v77
	v_fma_f64 v[69:70], v[60:61], v[69:70], s[24:25]
	v_add_nc_u32_e32 v64, 0x53244, v1
	v_ashrrev_i32_e32 v65, 31, v64
	v_lshlrev_b64 v[30:31], 3, v[64:65]
	v_fma_f64 v[64:65], v[36:37], v[67:68], s[34:35]
	v_add_nc_u32_e32 v68, 0x55460, v1
	v_cvt_i32_f64_e32 v77, v[10:11]
	v_add_co_u32 v40, s1, s16, v30
	v_add_co_ci_u32_e64 v41, null, s17, v31, s1
	v_cmp_nlt_f64_e64 s1, 0x40900000, v[34:35]
	v_fma_f64 v[66:67], v[60:61], v[69:70], s[26:27]
	v_ashrrev_i32_e32 v69, 31, v68
	v_add_co_u32 v34, s3, s14, v6
	v_add_co_ci_u32_e64 v35, null, s15, v7, s3
	v_lshlrev_b64 v[12:13], 3, v[68:69]
	v_cvt_f32_f64_e32 v70, v[62:63]
	s_waitcnt vmcnt(2)
	v_mul_f64 v[6:7], v[44:45], s[10:11]
	global_load_dwordx2 v[40:41], v[40:41], off
	v_add_co_u32 v62, s3, s16, v12
	v_add_co_ci_u32_e64 v63, null, s17, v13, s3
	v_cmp_eq_u32_e64 s3, 28, v0
	v_fma_f64 v[64:65], v[36:37], v[64:65], s[36:37]
	v_cndmask_b32_e64 v68, -v46, v47, s3
	global_load_dwordx2 v[46:47], v[62:63], off
	v_fma_f64 v[62:63], v[60:61], v[66:67], s[28:29]
	s_and_b32 vcc_lo, s2, s1
	v_cndmask_b32_e64 v59, 0x7ff00000, v59, s1
	v_cvt_f64_f32_e32 v[68:69], v68
	v_cndmask_b32_e32 v58, 0, v58, vcc_lo
	v_cmp_eq_u32_e32 vcc_lo, 29, v0
	v_fma_f64 v[66:67], v[10:11], s[12:13], v[42:43]
	v_rndne_f64_e32 v[6:7], v[6:7]
	v_cndmask_b32_e64 v59, 0, v59, s2
	v_cmp_nlt_f64_e64 s1, 0x40900000, v[52:53]
	v_cndmask_b32_e64 v71, -v71, v73, vcc_lo
	v_sub_f32_e32 v73, v72, v70
	v_cmp_eq_u32_e32 vcc_lo, 30, v0
	v_mul_f64 v[58:59], v[58:59], v[2:3]
	v_cmp_ngt_f64_e64 s2, 0xc090cc00, v[52:53]
	v_cmp_eq_u32_e64 s3, 34, v0
	v_fma_f64 v[64:65], v[36:37], v[64:65], s[38:39]
	v_cndmask_b32_e64 v75, -v70, v73, vcc_lo
	v_cvt_f64_f32_e32 v[70:71], v71
	v_add_co_u32 v14, vcc_lo, s14, v14
	v_add_co_ci_u32_e64 v15, null, s15, v15, vcc_lo
	v_fma_f64 v[73:74], v[60:61], v[62:63], s[30:31]
	v_add_co_u32 v26, vcc_lo, s14, v26
	global_store_dwordx2 v[34:35], v[68:69], off
	v_cvt_f64_f32_e32 v[34:35], v75
	v_cvt_f32_f64_e32 v75, v[56:57]
	v_fma_f64 v[56:57], v[6:7], s[12:13], v[44:45]
	v_add_co_ci_u32_e64 v27, null, s15, v27, vcc_lo
	v_cmp_eq_u32_e32 vcc_lo, 31, v0
	v_fma_f64 v[62:63], v[10:11], s[18:19], v[66:67]
	v_fma_f64 v[64:65], v[36:37], v[64:65], s[40:41]
	global_store_dwordx2 v[14:15], v[70:71], off
	v_fma_f64 v[14:15], v[60:61], v[73:74], s[34:35]
	v_cvt_f32_f64_e32 v73, v[58:59]
	v_add_nc_u32_e32 v58, 0x5767c, v1
	global_store_dwordx2 v[26:27], v[34:35], off
	v_sub_f32_e32 v34, v72, v75
	v_fma_f64 v[66:67], v[6:7], s[18:19], v[56:57]
	v_ashrrev_i32_e32 v59, 31, v58
	v_cndmask_b32_e64 v56, -v75, v34, vcc_lo
	v_add_co_u32 v18, vcc_lo, s14, v18
	v_lshlrev_b64 v[34:35], 3, v[58:59]
	v_add_co_ci_u32_e64 v19, null, s15, v19, vcc_lo
	v_fma_f64 v[68:69], v[62:63], s[22:23], s[20:21]
	v_cvt_f64_f32_e32 v[56:57], v56
	v_fma_f64 v[64:65], v[36:37], v[64:65], 1.0
	v_cvt_i32_f64_e32 v75, v[48:49]
	v_fma_f64 v[70:71], v[60:61], v[14:15], s[36:37]
	v_add_co_u32 v14, vcc_lo, s16, v34
	v_add_co_ci_u32_e64 v15, null, s17, v35, vcc_lo
	v_sub_f32_e32 v58, v72, v73
	v_cmp_eq_u32_e32 vcc_lo, 32, v0
	global_load_dwordx2 v[14:15], v[14:15], off
	s_waitcnt vmcnt(4)
	v_mul_f64 v[26:27], v[32:33], s[10:11]
	v_cndmask_b32_e64 v73, -v73, v58, vcc_lo
	v_add_co_u32 v20, vcc_lo, s14, v20
	v_add_co_ci_u32_e64 v21, null, s15, v21, vcc_lo
	v_fma_f64 v[68:69], v[62:63], v[68:69], s[24:25]
	global_store_dwordx2 v[18:19], v[56:57], off
	v_cvt_f64_f32_e32 v[56:57], v73
	v_fma_f64 v[18:19], v[60:61], v[70:71], s[38:39]
	v_fma_f64 v[70:71], v[36:37], v[64:65], 1.0
	v_rndne_f64_e32 v[58:59], v[26:27]
	v_fma_f64 v[26:27], v[66:67], s[22:23], s[20:21]
	v_fma_f64 v[68:69], v[62:63], v[68:69], s[26:27]
	global_store_dwordx2 v[20:21], v[56:57], off
	v_fma_f64 v[18:19], v[60:61], v[18:19], s[40:41]
	s_waitcnt vmcnt(3)
	v_mul_f64 v[56:57], v[50:51], s[10:11]
	v_fma_f64 v[36:37], v[58:59], s[12:13], v[32:33]
	v_fma_f64 v[73:74], v[66:67], v[26:27], s[24:25]
	v_add_nc_u32_e32 v26, 0x59898, v1
	v_ashrrev_i32_e32 v27, 31, v26
	v_fma_f64 v[20:21], v[62:63], v[68:69], s[28:29]
	v_lshlrev_b64 v[26:27], 3, v[26:27]
	v_fma_f64 v[18:19], v[60:61], v[18:19], 1.0
	v_rndne_f64_e32 v[56:57], v[56:57]
	v_add_co_u32 v68, vcc_lo, s16, v26
	v_add_co_ci_u32_e64 v69, null, s17, v27, vcc_lo
	v_fma_f64 v[64:65], v[58:59], s[18:19], v[36:37]
	v_fma_f64 v[73:74], v[66:67], v[73:74], s[26:27]
	v_cmp_nlt_f64_e32 vcc_lo, 0x40900000, v[38:39]
	global_load_dwordx2 v[36:37], v[68:69], off
	v_fma_f64 v[20:21], v[62:63], v[20:21], s[30:31]
	v_fma_f64 v[18:19], v[60:61], v[18:19], 1.0
	v_fma_f64 v[60:61], v[56:57], s[12:13], v[50:51]
	v_fma_f64 v[48:49], v[64:65], s[22:23], s[20:21]
	;; [unrolled: 1-line block ×3, first 2 shown]
	v_cvt_i32_f64_e32 v73, v[54:55]
	v_ldexp_f64 v[54:55], v[70:71], v75
	v_fma_f64 v[20:21], v[62:63], v[20:21], s[34:35]
	v_fma_f64 v[60:61], v[56:57], s[18:19], v[60:61]
	;; [unrolled: 1-line block ×4, first 2 shown]
	v_ldexp_f64 v[18:19], v[18:19], v73
	v_cndmask_b32_e32 v55, 0x7ff00000, v55, vcc_lo
	s_and_b32 vcc_lo, s0, vcc_lo
	v_cndmask_b32_e32 v54, 0, v54, vcc_lo
	s_and_b32 vcc_lo, s2, s1
	v_fma_f64 v[20:21], v[62:63], v[20:21], s[36:37]
	v_cndmask_b32_e64 v55, 0, v55, s0
	v_cmp_ngt_f64_e64 s0, 0xc090cc00, v[42:43]
	v_fma_f64 v[70:71], v[60:61], s[22:23], s[20:21]
	v_fma_f64 v[48:49], v[64:65], v[48:49], s[26:27]
	;; [unrolled: 1-line block ×3, first 2 shown]
	v_cndmask_b32_e64 v73, 0x7ff00000, v19, s1
	v_fma_f64 v[20:21], v[62:63], v[20:21], s[38:39]
	v_fma_f64 v[70:71], v[60:61], v[70:71], s[24:25]
	;; [unrolled: 1-line block ×6, first 2 shown]
	v_cndmask_b32_e64 v71, 0, v73, s2
	v_mul_f64 v[73:74], v[54:55], v[2:3]
	v_cndmask_b32_e32 v70, 0, v18, vcc_lo
	v_add_nc_u32_e32 v18, 0x5dcd0, v1
	v_cmp_ngt_f64_e64 s2, 0xc090cc00, v[44:45]
	v_fma_f64 v[48:49], v[64:65], v[48:49], s[30:31]
	v_fma_f64 v[68:69], v[66:67], v[68:69], s[38:39]
	v_fma_f64 v[19:20], v[62:63], v[20:21], 1.0
	v_fma_f64 v[75:76], v[60:61], v[38:39], s[28:29]
	v_cvt_f32_f64_e32 v73, v[73:74]
	v_cvt_i32_f64_e32 v74, v[6:7]
	v_fma_f64 v[48:49], v[64:65], v[48:49], s[34:35]
	v_fma_f64 v[52:53], v[66:67], v[68:69], s[40:41]
	v_add_nc_u32_e32 v68, 0x5bab4, v1
	v_ashrrev_i32_e32 v69, 31, v68
	v_fma_f64 v[62:63], v[62:63], v[19:20], 1.0
	v_ashrrev_i32_e32 v19, 31, v18
	v_lshlrev_b64 v[20:21], 3, v[68:69]
	v_mul_f64 v[68:69], v[70:71], v[2:3]
	v_lshlrev_b64 v[18:19], 3, v[18:19]
	v_add_co_u32 v10, vcc_lo, s16, v20
	v_add_co_ci_u32_e64 v11, null, s17, v21, vcc_lo
	v_add_co_u32 v38, vcc_lo, s16, v18
	v_fma_f64 v[52:53], v[66:67], v[52:53], 1.0
	v_add_co_ci_u32_e64 v39, null, s17, v19, vcc_lo
	s_clause 0x1
	global_load_dwordx2 v[54:55], v[10:11], off
	global_load_dwordx2 v[38:39], v[38:39], off
	v_fma_f64 v[10:11], v[60:61], v[75:76], s[30:31]
	v_ldexp_f64 v[6:7], v[62:63], v77
	v_sub_f32_e32 v75, v72, v73
	v_cmp_eq_u32_e32 vcc_lo, 33, v0
	v_fma_f64 v[48:49], v[64:65], v[48:49], s[36:37]
	s_waitcnt vmcnt(4)
	v_mul_f64 v[70:71], v[46:47], s[10:11]
	v_fma_f64 v[52:53], v[66:67], v[52:53], 1.0
	v_mul_f64 v[66:67], v[40:41], s[10:11]
	v_fma_f64 v[10:11], v[60:61], v[10:11], s[34:35]
	v_fma_f64 v[48:49], v[64:65], v[48:49], s[38:39]
	v_ldexp_f64 v[52:53], v[52:53], v74
	v_rndne_f64_e32 v[62:63], v[66:67]
	v_cndmask_b32_e64 v66, -v73, v75, vcc_lo
	v_cmp_nlt_f64_e32 vcc_lo, 0x40900000, v[42:43]
	v_cvt_f32_f64_e32 v73, v[68:69]
	v_rndne_f64_e32 v[42:43], v[70:71]
	v_fma_f64 v[10:11], v[60:61], v[10:11], s[36:37]
	v_cvt_f64_f32_e32 v[66:67], v66
	v_cvt_i32_f64_e32 v75, v[58:59]
	v_fma_f64 v[48:49], v[64:65], v[48:49], s[40:41]
	v_fma_f64 v[68:69], v[62:63], s[12:13], v[40:41]
	v_cndmask_b32_e32 v74, 0x7ff00000, v7, vcc_lo
	v_add_co_u32 v7, s1, s14, v8
	v_add_co_ci_u32_e64 v8, null, s15, v9, s1
	v_cmp_nlt_f64_e64 s1, 0x40900000, v[44:45]
	v_fma_f64 v[44:45], v[60:61], v[10:11], s[38:39]
	s_and_b32 vcc_lo, s0, vcc_lo
	global_store_dwordx2 v[7:8], v[66:67], off
	v_sub_f32_e32 v7, v72, v73
	v_fma_f64 v[8:9], v[42:43], s[12:13], v[46:47]
	v_cndmask_b32_e32 v6, 0, v6, vcc_lo
	v_fma_f64 v[48:49], v[64:65], v[48:49], 1.0
	v_add_nc_u32_e32 v10, 0x5feec, v1
	v_cndmask_b32_e64 v70, -v73, v7, s3
	v_cndmask_b32_e64 v7, 0, v74, s0
	v_cmp_ngt_f64_e64 s0, 0xc090cc00, v[32:33]
	v_cvt_i32_f64_e32 v77, v[42:43]
	v_ashrrev_i32_e32 v11, 31, v10
	v_fma_f64 v[66:67], v[62:63], s[18:19], v[68:69]
	v_cvt_f64_f32_e32 v[68:69], v70
	v_add_co_u32 v70, vcc_lo, s14, v4
	v_add_co_ci_u32_e64 v71, null, s15, v5, vcc_lo
	v_mul_f64 v[58:59], v[6:7], v[2:3]
	v_add_nc_u32_e32 v6, 0x62108, v1
	v_lshlrev_b64 v[10:11], 3, v[10:11]
	v_cndmask_b32_e64 v53, 0x7ff00000, v53, s1
	v_fma_f64 v[4:5], v[42:43], s[18:19], v[8:9]
	v_fma_f64 v[8:9], v[60:61], v[44:45], s[40:41]
	v_ashrrev_i32_e32 v7, 31, v6
	v_fma_f64 v[64:65], v[64:65], v[48:49], 1.0
	v_add_co_u32 v48, vcc_lo, s16, v10
	v_add_co_ci_u32_e64 v49, null, s17, v11, vcc_lo
	v_lshlrev_b64 v[6:7], 3, v[6:7]
	s_and_b32 vcc_lo, s2, s1
	v_fma_f64 v[73:74], v[66:67], s[22:23], s[20:21]
	global_store_dwordx2 v[70:71], v[68:69], off
	s_waitcnt vmcnt(3)
	v_mul_f64 v[68:69], v[14:15], s[10:11]
	v_cndmask_b32_e64 v53, 0, v53, s2
	v_cndmask_b32_e32 v52, 0, v52, vcc_lo
	v_add_co_u32 v44, vcc_lo, s16, v6
	v_cvt_f32_f64_e32 v76, v[58:59]
	v_add_co_ci_u32_e64 v45, null, s17, v7, vcc_lo
	v_cmp_nlt_f64_e32 vcc_lo, 0x40900000, v[32:33]
	v_mul_f64 v[52:53], v[52:53], v[2:3]
	v_fma_f64 v[70:71], v[4:5], s[22:23], s[20:21]
	v_fma_f64 v[8:9], v[60:61], v[8:9], 1.0
	v_cmp_eq_u32_e64 s1, 35, v0
	v_ldexp_f64 v[64:65], v[64:65], v75
	global_load_dwordx2 v[48:49], v[48:49], off
	v_cmp_ngt_f64_e64 s2, 0xc090cc00, v[46:47]
	v_fma_f64 v[73:74], v[66:67], v[73:74], s[24:25]
	v_rndne_f64_e32 v[58:59], v[68:69]
	v_cvt_f32_f64_e32 v75, v[52:53]
	v_fma_f64 v[68:69], v[4:5], v[70:71], s[24:25]
	v_fma_f64 v[8:9], v[60:61], v[8:9], 1.0
	v_sub_f32_e32 v60, v72, v76
	v_cndmask_b32_e32 v65, 0x7ff00000, v65, vcc_lo
	s_and_b32 vcc_lo, s0, vcc_lo
	v_cndmask_b32_e32 v64, 0, v64, vcc_lo
	v_cmp_nlt_f64_e32 vcc_lo, 0x40900000, v[50:51]
	v_cndmask_b32_e64 v65, 0, v65, s0
	v_cmp_ngt_f64_e64 s0, 0xc090cc00, v[50:51]
	v_fma_f64 v[32:33], v[66:67], v[73:74], s[26:27]
	v_cvt_i32_f64_e32 v73, v[56:57]
	v_fma_f64 v[56:57], v[58:59], s[12:13], v[14:15]
	v_cndmask_b32_e64 v74, -v76, v60, s1
	v_add_co_u32 v60, s1, s14, v16
	v_add_co_ci_u32_e64 v61, null, s15, v17, s1
	v_cvt_f64_f32_e32 v[52:53], v74
	v_mul_f64 v[64:65], v[64:65], v[2:3]
	v_cmp_eq_u32_e64 s1, 36, v0
	v_cvt_i32_f64_e32 v76, v[62:63]
	v_fma_f64 v[68:69], v[4:5], v[68:69], s[26:27]
	s_waitcnt vmcnt(3)
	v_mul_f64 v[16:17], v[36:37], s[10:11]
	v_fma_f64 v[70:71], v[66:67], v[32:33], s[28:29]
	v_fma_f64 v[32:33], v[58:59], s[18:19], v[56:57]
	global_store_dwordx2 v[60:61], v[52:53], off
	v_fma_f64 v[56:57], v[4:5], v[68:69], s[28:29]
	v_rndne_f64_e32 v[16:17], v[16:17]
	v_fma_f64 v[68:69], v[66:67], v[70:71], s[30:31]
	v_ldexp_f64 v[70:71], v[8:9], v73
	v_fma_f64 v[52:53], v[32:33], s[22:23], s[20:21]
	v_sub_f32_e32 v73, v72, v75
	v_fma_f64 v[8:9], v[4:5], v[56:57], s[30:31]
	v_fma_f64 v[60:61], v[16:17], s[12:13], v[36:37]
	;; [unrolled: 1-line block ×3, first 2 shown]
	v_cndmask_b32_e32 v71, 0x7ff00000, v71, vcc_lo
	v_fma_f64 v[52:53], v[32:33], v[52:53], s[24:25]
	s_and_b32 vcc_lo, s0, vcc_lo
	v_cndmask_b32_e64 v68, -v75, v73, s1
	v_cvt_f32_f64_e32 v75, v[64:65]
	v_cndmask_b32_e64 v65, 0, v71, s0
	v_cndmask_b32_e32 v64, 0, v70, vcc_lo
	v_add_co_u32 v50, s1, s14, v28
	v_cvt_f64_f32_e32 v[68:69], v68
	v_add_nc_u32_e32 v28, 0x64324, v1
	v_fma_f64 v[8:9], v[4:5], v[8:9], s[34:35]
	v_mul_f64 v[64:65], v[64:65], v[2:3]
	v_cmp_eq_u32_e32 vcc_lo, 37, v0
	v_add_co_ci_u32_e64 v51, null, s15, v29, s1
	v_ashrrev_i32_e32 v29, 31, v28
	v_fma_f64 v[60:61], v[16:17], s[18:19], v[60:61]
	v_cmp_ngt_f64_e64 s0, 0xc090cc00, v[40:41]
	v_cvt_i32_f64_e32 v16, v[16:17]
	v_lshlrev_b64 v[28:29], 3, v[28:29]
	v_fma_f64 v[56:57], v[66:67], v[56:57], s[36:37]
	v_fma_f64 v[52:53], v[32:33], v[52:53], s[26:27]
	v_sub_f32_e32 v70, v72, v75
	v_cndmask_b32_e64 v70, -v75, v70, vcc_lo
	global_store_dwordx2 v[50:51], v[68:69], off
	v_fma_f64 v[73:74], v[4:5], v[8:9], s[36:37]
	v_cvt_f32_f64_e32 v75, v[64:65]
	v_add_co_u32 v64, vcc_lo, s14, v22
	v_add_nc_u32_e32 v22, 0x66540, v1
	v_add_co_ci_u32_e64 v65, null, s15, v23, vcc_lo
	v_add_co_u32 v68, s1, s16, v28
	v_ashrrev_i32_e32 v23, 31, v22
	v_add_co_ci_u32_e64 v69, null, s17, v29, s1
	v_fma_f64 v[52:53], v[32:33], v[52:53], s[28:29]
	v_fma_f64 v[50:51], v[60:61], s[22:23], s[20:21]
	v_lshlrev_b64 v[22:23], 3, v[22:23]
	global_load_dwordx2 v[8:9], v[68:69], off
	v_fma_f64 v[56:57], v[66:67], v[56:57], s[38:39]
	v_cvt_f64_f32_e32 v[70:71], v70
	v_cmp_nlt_f64_e64 s1, 0x40900000, v[46:47]
	v_fma_f64 v[68:69], v[4:5], v[73:74], s[38:39]
	v_fma_f64 v[52:53], v[32:33], v[52:53], s[30:31]
	;; [unrolled: 1-line block ×4, first 2 shown]
	global_store_dwordx2 v[64:65], v[70:71], off
	v_sub_f32_e32 v70, v72, v75
	v_fma_f64 v[68:69], v[4:5], v[68:69], s[40:41]
	v_fma_f64 v[73:74], v[32:33], v[52:53], s[34:35]
	v_add_co_u32 v52, vcc_lo, s16, v22
	v_add_co_ci_u32_e64 v53, null, s17, v23, vcc_lo
	v_fma_f64 v[50:51], v[60:61], v[50:51], s[26:27]
	v_fma_f64 v[56:57], v[66:67], v[56:57], 1.0
	v_cmp_eq_u32_e32 vcc_lo, 38, v0
	s_clause 0x1
	global_load_dwordx2 v[52:53], v[52:53], off
	global_load_dwordx2 v[44:45], v[44:45], off
	v_fma_f64 v[64:65], v[4:5], v[68:69], 1.0
	v_cndmask_b32_e64 v75, -v75, v70, vcc_lo
	v_add_co_u32 v24, vcc_lo, s14, v24
	s_waitcnt vmcnt(4)
	v_mul_f64 v[68:69], v[38:39], s[10:11]
	v_add_co_ci_u32_e64 v25, null, s15, v25, vcc_lo
	v_cvt_f64_f32_e32 v[42:43], v75
	v_cvt_i32_f64_e32 v75, v[58:59]
	v_fma_f64 v[70:71], v[32:33], v[73:74], s[36:37]
	v_fma_f64 v[50:51], v[60:61], v[50:51], s[28:29]
	v_fma_f64 v[56:57], v[66:67], v[56:57], 1.0
	v_mul_f64 v[66:67], v[54:55], s[10:11]
	v_fma_f64 v[4:5], v[4:5], v[64:65], 1.0
	global_store_dwordx2 v[24:25], v[42:43], off
	v_fma_f64 v[64:65], v[32:33], v[70:71], s[38:39]
	v_fma_f64 v[73:74], v[60:61], v[50:51], s[30:31]
	v_rndne_f64_e32 v[50:51], v[68:69]
	v_rndne_f64_e32 v[62:63], v[66:67]
	v_add_nc_u32_e32 v68, 0x6875c, v1
	v_ldexp_f64 v[56:57], v[56:57], v76
	v_ldexp_f64 v[70:71], v[4:5], v77
	v_ashrrev_i32_e32 v69, 31, v68
	v_lshlrev_b64 v[4:5], 3, v[68:69]
	v_fma_f64 v[64:65], v[32:33], v[64:65], s[40:41]
	v_add_co_u32 v42, vcc_lo, s16, v4
	v_add_co_ci_u32_e64 v43, null, s17, v5, vcc_lo
	v_fma_f64 v[66:67], v[60:61], v[73:74], s[34:35]
	v_fma_f64 v[24:25], v[62:63], s[12:13], v[54:55]
	;; [unrolled: 1-line block ×3, first 2 shown]
	global_load_dwordx2 v[42:43], v[42:43], off
	v_cmp_nlt_f64_e32 vcc_lo, 0x40900000, v[40:41]
	v_cndmask_b32_e64 v71, 0x7ff00000, v71, s1
	v_fma_f64 v[40:41], v[32:33], v[64:65], 1.0
	v_cndmask_b32_e64 v65, 0, v71, s2
	v_fma_f64 v[68:69], v[60:61], v[66:67], s[36:37]
	v_fma_f64 v[66:67], v[62:63], s[18:19], v[24:25]
	;; [unrolled: 1-line block ×3, first 2 shown]
	v_cndmask_b32_e32 v57, 0x7ff00000, v57, vcc_lo
	s_and_b32 vcc_lo, s0, vcc_lo
	v_cndmask_b32_e32 v56, 0, v56, vcc_lo
	s_and_b32 vcc_lo, s2, s1
	v_cndmask_b32_e64 v57, 0, v57, s0
	v_cndmask_b32_e32 v64, 0, v70, vcc_lo
	v_cmp_nlt_f64_e32 vcc_lo, 0x40900000, v[14:15]
	v_cmp_ngt_f64_e64 s0, 0xc090cc00, v[14:15]
	v_cmp_eq_u32_e64 s1, 39, v0
	v_mul_f64 v[73:74], v[56:57], v[2:3]
	v_cmp_ngt_f64_e64 s2, 0xc090cc00, v[38:39]
	v_fma_f64 v[32:33], v[32:33], v[40:41], 1.0
	v_fma_f64 v[46:47], v[60:61], v[68:69], s[38:39]
	v_fma_f64 v[68:69], v[66:67], s[22:23], s[20:21]
	;; [unrolled: 1-line block ×3, first 2 shown]
	v_ldexp_f64 v[32:33], v[32:33], v75
	v_cvt_f32_f64_e32 v75, v[73:74]
	s_waitcnt vmcnt(4)
	v_mul_f64 v[40:41], v[48:49], s[10:11]
	v_fma_f64 v[46:47], v[60:61], v[46:47], s[40:41]
	v_fma_f64 v[58:59], v[66:67], v[68:69], s[24:25]
	;; [unrolled: 1-line block ×3, first 2 shown]
	v_cndmask_b32_e32 v33, 0x7ff00000, v33, vcc_lo
	v_sub_f32_e32 v14, v72, v75
	s_and_b32 vcc_lo, s0, vcc_lo
	v_rndne_f64_e32 v[56:57], v[40:41]
	v_cndmask_b32_e64 v33, 0, v33, s0
	v_fma_f64 v[40:41], v[60:61], v[46:47], 1.0
	v_fma_f64 v[58:59], v[66:67], v[58:59], s[26:27]
	v_fma_f64 v[68:69], v[24:25], v[68:69], s[26:27]
	v_cndmask_b32_e64 v14, -v75, v14, s1
	v_add_co_u32 v30, s1, s14, v30
	v_add_co_ci_u32_e64 v31, null, s15, v31, s1
	v_cvt_f64_f32_e32 v[14:15], v14
	v_cndmask_b32_e32 v32, 0, v32, vcc_lo
	v_cmp_nlt_f64_e32 vcc_lo, 0x40900000, v[36:37]
	v_cmp_ngt_f64_e64 s0, 0xc090cc00, v[36:37]
	v_fma_f64 v[40:41], v[60:61], v[40:41], 1.0
	v_mul_f64 v[60:61], v[64:65], v[2:3]
	v_fma_f64 v[64:65], v[66:67], v[58:59], s[28:29]
	v_fma_f64 v[68:69], v[24:25], v[68:69], s[28:29]
	global_store_dwordx2 v[30:31], v[14:15], off
	v_mul_f64 v[30:31], v[32:33], v[2:3]
	v_ldexp_f64 v[16:17], v[40:41], v16
	v_cvt_f32_f64_e32 v40, v[60:61]
	v_fma_f64 v[64:65], v[66:67], v[64:65], s[30:31]
	v_fma_f64 v[68:69], v[24:25], v[68:69], s[30:31]
	v_cndmask_b32_e32 v17, 0x7ff00000, v17, vcc_lo
	v_sub_f32_e32 v41, v72, v40
	v_fma_f64 v[64:65], v[66:67], v[64:65], s[34:35]
	v_fma_f64 v[68:69], v[24:25], v[68:69], s[34:35]
	s_and_b32 vcc_lo, s0, vcc_lo
	s_waitcnt vmcnt(1)
	v_mul_f64 v[70:71], v[44:45], s[10:11]
	v_rndne_f64_e32 v[46:47], v[70:71]
	v_fma_f64 v[70:71], v[56:57], s[12:13], v[48:49]
	v_fma_f64 v[73:74], v[46:47], s[12:13], v[44:45]
	;; [unrolled: 1-line block ×5, first 2 shown]
	v_add_nc_u32_e32 v73, 0x6a978, v1
	v_ashrrev_i32_e32 v74, 31, v73
	v_lshlrev_b64 v[14:15], 3, v[73:74]
	v_add_co_u32 v32, s1, s16, v14
	v_add_co_ci_u32_e64 v33, null, s17, v15, s1
	v_fma_f64 v[73:74], v[60:61], s[22:23], s[20:21]
	v_fma_f64 v[36:37], v[58:59], v[70:71], s[24:25]
	v_cmp_eq_u32_e64 s1, 40, v0
	global_load_dwordx2 v[32:33], v[32:33], off
	v_cvt_f32_f64_e32 v71, v[30:31]
	v_fma_f64 v[30:31], v[66:67], v[64:65], s[36:37]
	v_cndmask_b32_e64 v70, -v40, v41, s1
	v_fma_f64 v[40:41], v[24:25], v[68:69], s[36:37]
	v_add_co_u32 v12, s1, s14, v12
	v_add_co_ci_u32_e64 v13, null, s15, v13, s1
	v_cvt_f64_f32_e32 v[68:69], v70
	v_cmp_eq_u32_e64 s1, 41, v0
	v_fma_f64 v[64:65], v[60:61], v[73:74], s[24:25]
	v_fma_f64 v[36:37], v[58:59], v[36:37], s[26:27]
	v_sub_f32_e32 v70, v72, v71
	v_fma_f64 v[30:31], v[66:67], v[30:31], s[38:39]
	v_fma_f64 v[40:41], v[24:25], v[40:41], s[38:39]
	v_cndmask_b32_e64 v70, -v71, v70, s1
	v_cndmask_b32_e64 v71, 0, v17, s0
	v_cmp_ngt_f64_e64 s0, 0xc090cc00, v[54:55]
	v_cmp_nlt_f64_e64 s1, 0x40900000, v[38:39]
	global_store_dwordx2 v[12:13], v[68:69], off
	v_mul_f64 v[68:69], v[8:9], s[10:11]
	v_fma_f64 v[64:65], v[60:61], v[64:65], s[26:27]
	v_fma_f64 v[12:13], v[58:59], v[36:37], s[28:29]
	v_cvt_f64_f32_e32 v[36:37], v70
	v_cndmask_b32_e32 v70, 0, v16, vcc_lo
	v_add_nc_u32_e32 v16, 0x6cb94, v1
	v_add_co_u32 v34, vcc_lo, s14, v34
	v_add_co_ci_u32_e64 v35, null, s15, v35, vcc_lo
	v_fma_f64 v[73:74], v[24:25], v[40:41], s[40:41]
	v_ashrrev_i32_e32 v17, 31, v16
	v_fma_f64 v[30:31], v[66:67], v[30:31], s[40:41]
	v_mul_f64 v[70:71], v[70:71], v[2:3]
	v_lshlrev_b64 v[16:17], 3, v[16:17]
	v_fma_f64 v[75:76], v[60:61], v[64:65], s[28:29]
	v_fma_f64 v[12:13], v[58:59], v[12:13], s[30:31]
	global_store_dwordx2 v[34:35], v[36:37], off
	v_add_co_u32 v34, vcc_lo, s16, v16
	v_add_co_ci_u32_e64 v35, null, s17, v17, vcc_lo
	v_rndne_f64_e32 v[64:65], v[68:69]
	global_load_dwordx2 v[40:41], v[34:35], off
	v_fma_f64 v[34:35], v[24:25], v[73:74], 1.0
	v_fma_f64 v[30:31], v[66:67], v[30:31], 1.0
	v_cvt_f32_f64_e32 v73, v[70:71]
	v_cvt_i32_f64_e32 v74, v[62:63]
	v_fma_f64 v[36:37], v[60:61], v[75:76], s[30:31]
	v_fma_f64 v[68:69], v[58:59], v[12:13], s[34:35]
	v_add_nc_u32_e32 v12, 0x6edb0, v1
	v_cvt_i32_f64_e32 v75, v[50:51]
	v_cvt_i32_f64_e32 v76, v[56:57]
	v_fma_f64 v[70:71], v[64:65], s[12:13], v[8:9]
	v_ashrrev_i32_e32 v13, 31, v12
	v_cvt_i32_f64_e32 v77, v[64:65]
	v_fma_f64 v[24:25], v[24:25], v[34:35], 1.0
	v_fma_f64 v[66:67], v[66:67], v[30:31], 1.0
	v_lshlrev_b64 v[12:13], 3, v[12:13]
	v_add_co_u32 v30, vcc_lo, s16, v12
	v_add_co_ci_u32_e64 v31, null, s17, v13, vcc_lo
	v_fma_f64 v[34:35], v[60:61], v[36:37], s[34:35]
	v_fma_f64 v[36:37], v[58:59], v[68:69], s[36:37]
	v_mul_f64 v[68:69], v[52:53], s[10:11]
	v_add_co_u32 v26, vcc_lo, s14, v26
	v_add_co_ci_u32_e64 v27, null, s15, v27, vcc_lo
	v_fma_f64 v[62:63], v[64:65], s[18:19], v[70:71]
	v_sub_f32_e32 v70, v72, v73
	v_cmp_eq_u32_e32 vcc_lo, 42, v0
	global_load_dwordx2 v[30:31], v[30:31], off
	v_ldexp_f64 v[66:67], v[66:67], v74
	v_cndmask_b32_e64 v70, -v73, v70, vcc_lo
	v_ldexp_f64 v[73:74], v[24:25], v75
	v_cmp_nlt_f64_e32 vcc_lo, 0x40900000, v[54:55]
	v_cvt_f64_f32_e32 v[70:71], v70
	v_fma_f64 v[50:51], v[60:61], v[34:35], s[36:37]
	v_fma_f64 v[36:37], v[58:59], v[36:37], s[38:39]
	v_rndne_f64_e32 v[34:35], v[68:69]
	v_fma_f64 v[68:69], v[62:63], s[22:23], s[20:21]
	v_cndmask_b32_e32 v75, 0x7ff00000, v67, vcc_lo
	s_and_b32 vcc_lo, s0, vcc_lo
	global_store_dwordx2 v[26:27], v[70:71], off
	v_add_nc_u32_e32 v26, 0x70fcc, v1
	v_cndmask_b32_e64 v71, 0x7ff00000, v74, s1
	v_fma_f64 v[24:25], v[60:61], v[50:51], s[38:39]
	v_fma_f64 v[36:37], v[58:59], v[36:37], s[40:41]
	;; [unrolled: 1-line block ×3, first 2 shown]
	v_ashrrev_i32_e32 v27, 31, v26
	v_cndmask_b32_e64 v70, 0, v75, s0
	v_cndmask_b32_e64 v57, 0, v71, s2
	v_cmp_ngt_f64_e64 s0, 0xc090cc00, v[48:49]
	v_fma_f64 v[54:55], v[62:63], v[68:69], s[24:25]
	s_waitcnt vmcnt(3)
	v_mul_f64 v[67:68], v[42:43], s[10:11]
	v_cndmask_b32_e32 v69, 0, v66, vcc_lo
	v_fma_f64 v[38:39], v[60:61], v[24:25], s[40:41]
	v_fma_f64 v[36:37], v[58:59], v[36:37], 1.0
	v_lshlrev_b64 v[24:25], 3, v[26:27]
	v_fma_f64 v[26:27], v[34:35], s[18:19], v[50:51]
	v_fma_f64 v[54:55], v[62:63], v[54:55], s[26:27]
	v_add_co_u32 v50, vcc_lo, s16, v24
	v_add_co_ci_u32_e64 v51, null, s17, v25, vcc_lo
	s_and_b32 vcc_lo, s2, s1
	v_cmp_ngt_f64_e64 s2, 0xc090cc00, v[8:9]
	v_cndmask_b32_e32 v56, 0, v73, vcc_lo
	global_load_dwordx2 v[50:51], v[50:51], off
	v_mul_f64 v[56:57], v[56:57], v[2:3]
	v_fma_f64 v[74:75], v[60:61], v[38:39], 1.0
	v_fma_f64 v[58:59], v[58:59], v[36:37], 1.0
	v_rndne_f64_e32 v[38:39], v[67:68]
	v_fma_f64 v[36:37], v[26:27], s[22:23], s[20:21]
	v_mul_f64 v[66:67], v[69:70], v[2:3]
	v_add_nc_u32_e32 v68, 0x731e8, v1
	v_fma_f64 v[54:55], v[62:63], v[54:55], s[28:29]
	v_ashrrev_i32_e32 v69, 31, v68
	v_fma_f64 v[70:71], v[60:61], v[74:75], 1.0
	v_ldexp_f64 v[58:59], v[58:59], v76
	v_fma_f64 v[60:61], v[38:39], s[12:13], v[42:43]
	v_fma_f64 v[73:74], v[26:27], v[36:37], s[24:25]
	v_lshlrev_b64 v[36:37], 3, v[68:69]
	v_cvt_f32_f64_e32 v75, v[66:67]
	v_cvt_f32_f64_e32 v76, v[56:57]
	v_fma_f64 v[66:67], v[62:63], v[54:55], s[30:31]
	v_add_co_u32 v54, vcc_lo, s16, v36
	v_add_co_ci_u32_e64 v55, null, s17, v37, vcc_lo
	v_cmp_nlt_f64_e32 vcc_lo, 0x40900000, v[48:49]
	global_load_dwordx2 v[54:55], v[54:55], off
	v_fma_f64 v[60:61], v[38:39], s[18:19], v[60:61]
	v_fma_f64 v[68:69], v[26:27], v[73:74], s[26:27]
	v_cvt_i32_f64_e32 v73, v[46:47]
	v_fma_f64 v[66:67], v[62:63], v[66:67], s[34:35]
	v_cndmask_b32_e32 v59, 0x7ff00000, v59, vcc_lo
	s_and_b32 vcc_lo, s0, vcc_lo
	v_cndmask_b32_e32 v58, 0, v58, vcc_lo
	v_cmp_eq_u32_e32 vcc_lo, 43, v0
	v_cndmask_b32_e64 v59, 0, v59, s0
	v_cmp_ngt_f64_e64 s0, 0xc090cc00, v[44:45]
	v_fma_f64 v[48:49], v[60:61], s[22:23], s[20:21]
	v_fma_f64 v[56:57], v[26:27], v[68:69], s[28:29]
	;; [unrolled: 1-line block ×9, first 2 shown]
	s_waitcnt vmcnt(4)
	v_mul_f64 v[46:47], v[32:33], s[10:11]
	v_fma_f64 v[48:49], v[60:61], v[48:49], s[28:29]
	v_fma_f64 v[68:69], v[26:27], v[56:57], s[36:37]
	v_fma_f64 v[66:67], v[62:63], v[66:67], 1.0
	v_rndne_f64_e32 v[56:57], v[46:47]
	v_ldexp_f64 v[46:47], v[70:71], v73
	v_sub_f32_e32 v73, v72, v75
	v_mul_f64 v[70:71], v[58:59], v[2:3]
	v_cndmask_b32_e64 v58, -v75, v73, vcc_lo
	v_add_co_u32 v64, vcc_lo, s14, v20
	v_fma_f64 v[48:49], v[60:61], v[48:49], s[30:31]
	v_fma_f64 v[68:69], v[26:27], v[68:69], s[38:39]
	v_add_co_ci_u32_e64 v65, null, s15, v21, vcc_lo
	v_sub_f32_e32 v20, v72, v76
	v_fma_f64 v[66:67], v[62:63], v[66:67], 1.0
	v_cmp_eq_u32_e32 vcc_lo, 44, v0
	v_cvt_f64_f32_e32 v[73:74], v58
	v_cndmask_b32_e64 v20, -v76, v20, vcc_lo
	v_fma_f64 v[62:63], v[56:57], s[12:13], v[32:33]
	v_cmp_nlt_f64_e32 vcc_lo, 0x40900000, v[44:45]
	v_cvt_i32_f64_e32 v79, v[56:57]
	v_fma_f64 v[48:49], v[60:61], v[48:49], s[34:35]
	v_fma_f64 v[68:69], v[26:27], v[68:69], s[40:41]
	global_store_dwordx2 v[64:65], v[73:74], off
	v_cvt_i32_f64_e32 v73, v[34:35]
	v_add_nc_u32_e32 v65, 0x75404, v1
	v_fma_f64 v[58:59], v[56:57], s[18:19], v[62:63]
	v_cndmask_b32_e32 v62, 0x7ff00000, v47, vcc_lo
	v_add_co_u32 v63, s1, s14, v18
	v_add_co_ci_u32_e64 v64, null, s15, v19, s1
	v_cmp_nlt_f64_e64 s1, 0x40900000, v[8:9]
	v_add_nc_u32_e32 v8, 0x77620, v1
	s_waitcnt vmcnt(3)
	v_mul_f64 v[75:76], v[40:41], s[10:11]
	s_and_b32 vcc_lo, s0, vcc_lo
	v_fma_f64 v[44:45], v[60:61], v[48:49], s[36:37]
	v_fma_f64 v[68:69], v[26:27], v[68:69], 1.0
	v_cvt_f32_f64_e32 v49, v[70:71]
	v_cvt_f64_f32_e32 v[70:71], v20
	v_ldexp_f64 v[20:21], v[66:67], v77
	v_ashrrev_i32_e32 v66, 31, v65
	v_ashrrev_i32_e32 v9, 31, v8
	v_cndmask_b32_e32 v34, 0, v46, vcc_lo
	v_cndmask_b32_e64 v35, 0, v62, s0
	v_cmp_ngt_f64_e64 s0, 0xc090cc00, v[52:53]
	v_add_nc_u32_e32 v56, 0x7dc74, v1
	v_lshlrev_b64 v[8:9], 3, v[8:9]
	v_fma_f64 v[47:48], v[58:59], s[22:23], s[20:21]
	v_mul_f64 v[34:35], v[34:35], v[2:3]
	v_ashrrev_i32_e32 v57, 31, v56
	v_fma_f64 v[18:19], v[60:61], v[44:45], s[38:39]
	v_fma_f64 v[67:68], v[26:27], v[68:69], 1.0
	v_lshlrev_b64 v[26:27], 3, v[65:66]
	global_store_dwordx2 v[63:64], v[70:71], off
	v_sub_f32_e32 v71, v72, v49
	v_rndne_f64_e32 v[44:45], v[75:76]
	v_cndmask_b32_e64 v21, 0x7ff00000, v21, s1
	v_add_co_u32 v46, vcc_lo, s16, v26
	v_cndmask_b32_e64 v75, 0, v21, s2
	v_fma_f64 v[64:65], v[58:59], v[47:48], s[24:25]
	v_add_co_ci_u32_e64 v47, null, s17, v27, vcc_lo
	s_waitcnt vmcnt(2)
	v_mul_f64 v[62:63], v[30:31], s[10:11]
	v_fma_f64 v[18:19], v[60:61], v[18:19], s[40:41]
	v_ldexp_f64 v[66:67], v[67:68], v73
	v_add_co_u32 v73, vcc_lo, s16, v8
	v_add_co_ci_u32_e64 v74, null, s17, v9, vcc_lo
	v_cmp_eq_u32_e32 vcc_lo, 45, v0
	v_fma_f64 v[69:70], v[44:45], s[12:13], v[40:41]
	v_cvt_i32_f64_e32 v80, v[44:45]
	v_cndmask_b32_e64 v68, -v49, v71, vcc_lo
	s_and_b32 vcc_lo, s2, s1
	global_load_dwordx2 v[48:49], v[73:74], off
	v_cndmask_b32_e32 v74, 0, v20, vcc_lo
	v_cmp_nlt_f64_e32 vcc_lo, 0x40900000, v[52:53]
	v_cvt_f64_f32_e32 v[76:77], v68
	v_add_co_u32 v10, s1, s14, v10
	v_add_co_ci_u32_e64 v11, null, s15, v11, s1
	v_mul_f64 v[73:74], v[74:75], v[2:3]
	v_fma_f64 v[18:19], v[60:61], v[18:19], 1.0
	v_rndne_f64_e32 v[20:21], v[62:63]
	v_fma_f64 v[62:63], v[58:59], v[64:65], s[26:27]
	v_cvt_f32_f64_e32 v68, v[34:35]
	v_cmp_eq_u32_e64 s1, 48, v0
	v_cmp_ngt_f64_e64 s2, 0xc090cc00, v[40:41]
	v_fma_f64 v[64:65], v[44:45], s[18:19], v[69:70]
	v_cndmask_b32_e32 v67, 0x7ff00000, v67, vcc_lo
	global_store_dwordx2 v[10:11], v[76:77], off
	v_add_nc_u32_e32 v10, 0x7983c, v1
	s_and_b32 vcc_lo, s0, vcc_lo
	v_cvt_f32_f64_e32 v69, v[73:74]
	v_ashrrev_i32_e32 v11, 31, v10
	v_fma_f64 v[18:19], v[60:61], v[18:19], 1.0
	v_cndmask_b32_e32 v60, 0, v66, vcc_lo
	v_cndmask_b32_e64 v61, 0, v67, s0
	v_cvt_i32_f64_e32 v73, v[38:39]
	v_lshlrev_b64 v[10:11], 3, v[10:11]
	v_fma_f64 v[52:53], v[20:21], s[12:13], v[30:31]
	v_fma_f64 v[62:63], v[58:59], v[62:63], s[28:29]
	;; [unrolled: 1-line block ×3, first 2 shown]
	v_mul_f64 v[60:61], v[60:61], v[2:3]
	v_sub_f32_e32 v70, v72, v68
	v_add_co_u32 v66, vcc_lo, s16, v10
	v_add_co_ci_u32_e64 v67, null, s17, v11, vcc_lo
	v_add_co_u32 v6, vcc_lo, s14, v6
	v_add_co_ci_u32_e64 v7, null, s15, v7, vcc_lo
	s_clause 0x1
	global_load_dwordx2 v[38:39], v[66:67], off
	global_load_dwordx2 v[46:47], v[46:47], off
	v_cmp_eq_u32_e32 vcc_lo, 46, v0
	v_sub_f32_e32 v71, v72, v69
	v_cmp_ngt_f64_e64 s0, 0xc090cc00, v[42:43]
	s_waitcnt vmcnt(4)
	v_mul_f64 v[66:67], v[50:51], s[10:11]
	v_cndmask_b32_e64 v68, -v68, v70, vcc_lo
	v_cmp_eq_u32_e32 vcc_lo, 47, v0
	v_fma_f64 v[52:53], v[20:21], s[18:19], v[52:53]
	v_fma_f64 v[62:63], v[58:59], v[62:63], s[30:31]
	v_fma_f64 v[34:35], v[64:65], v[34:35], s[24:25]
	v_cvt_f32_f64_e32 v75, v[60:61]
	v_cndmask_b32_e64 v70, -v69, v71, vcc_lo
	v_cvt_f64_f32_e32 v[68:69], v68
	v_ldexp_f64 v[73:74], v[18:19], v73
	v_add_co_u32 v28, vcc_lo, s14, v28
	v_cvt_f64_f32_e32 v[70:71], v70
	v_add_co_ci_u32_e64 v29, null, s15, v29, vcc_lo
	v_cmp_nlt_f64_e32 vcc_lo, 0x40900000, v[42:43]
	global_store_dwordx2 v[6:7], v[68:69], off
	global_store_dwordx2 v[28:29], v[70:71], off
	v_fma_f64 v[60:61], v[52:53], s[22:23], s[20:21]
	v_fma_f64 v[62:63], v[58:59], v[62:63], s[34:35]
	v_rndne_f64_e32 v[18:19], v[66:67]
	v_fma_f64 v[34:35], v[64:65], v[34:35], s[26:27]
	v_sub_f32_e32 v68, v72, v75
	v_cndmask_b32_e32 v76, 0x7ff00000, v74, vcc_lo
	s_and_b32 vcc_lo, s0, vcc_lo
	v_cndmask_b32_e64 v74, -v75, v68, s1
	v_add_co_u32 v22, s1, s14, v22
	v_add_co_ci_u32_e64 v23, null, s15, v23, s1
	v_cvt_f64_f32_e32 v[74:75], v74
	v_fma_f64 v[6:7], v[52:53], v[60:61], s[24:25]
	v_add_nc_u32_e32 v60, 0x7ba58, v1
	v_fma_f64 v[28:29], v[58:59], v[62:63], s[36:37]
	v_fma_f64 v[42:43], v[18:19], s[12:13], v[50:51]
	s_waitcnt vmcnt(3)
	v_mul_f64 v[62:63], v[54:55], s[10:11]
	v_fma_f64 v[66:67], v[64:65], v[34:35], s[28:29]
	v_ashrrev_i32_e32 v61, 31, v60
	v_lshlrev_b64 v[34:35], 3, v[60:61]
	global_store_dwordx2 v[22:23], v[74:75], off
	v_add_co_u32 v60, s1, s16, v34
	v_add_co_ci_u32_e64 v61, null, s17, v35, s1
	v_cmp_nlt_f64_e64 s1, 0x40900000, v[40:41]
	v_fma_f64 v[68:69], v[52:53], v[6:7], s[26:27]
	v_fma_f64 v[70:71], v[58:59], v[28:29], s[38:39]
	global_load_dwordx2 v[6:7], v[60:61], off
	v_fma_f64 v[60:61], v[18:19], s[18:19], v[42:43]
	v_rndne_f64_e32 v[28:29], v[62:63]
	v_fma_f64 v[42:43], v[64:65], v[66:67], s[30:31]
	v_fma_f64 v[62:63], v[52:53], v[68:69], s[28:29]
	v_cndmask_b32_e32 v68, 0, v73, vcc_lo
	v_fma_f64 v[66:67], v[58:59], v[70:71], s[40:41]
	v_cndmask_b32_e64 v69, 0, v76, s0
	v_fma_f64 v[22:23], v[60:61], s[22:23], s[20:21]
	v_fma_f64 v[70:71], v[28:29], s[12:13], v[54:55]
	;; [unrolled: 1-line block ×3, first 2 shown]
	v_cmp_ngt_f64_e64 s0, 0xc090cc00, v[32:33]
	v_fma_f64 v[73:74], v[52:53], v[62:63], s[30:31]
	v_fma_f64 v[66:67], v[58:59], v[66:67], 1.0
	v_fma_f64 v[22:23], v[60:61], v[22:23], s[24:25]
	v_fma_f64 v[62:63], v[28:29], s[18:19], v[70:71]
	;; [unrolled: 1-line block ×4, first 2 shown]
	v_fma_f64 v[58:59], v[58:59], v[66:67], 1.0
	v_fma_f64 v[22:23], v[60:61], v[22:23], s[26:27]
	v_fma_f64 v[66:67], v[62:63], s[22:23], s[20:21]
	;; [unrolled: 1-line block ×4, first 2 shown]
	v_ldexp_f64 v[44:45], v[58:59], v79
	v_fma_f64 v[22:23], v[60:61], v[22:23], s[28:29]
	v_fma_f64 v[66:67], v[62:63], v[66:67], s[24:25]
	v_fma_f64 v[42:43], v[64:65], v[42:43], s[40:41]
	v_fma_f64 v[70:71], v[52:53], v[70:71], s[38:39]
	v_fma_f64 v[22:23], v[60:61], v[22:23], s[30:31]
	v_fma_f64 v[66:67], v[62:63], v[66:67], s[26:27]
	v_fma_f64 v[42:43], v[64:65], v[42:43], 1.0
	v_fma_f64 v[70:71], v[52:53], v[70:71], s[40:41]
	v_fma_f64 v[73:74], v[60:61], v[22:23], s[34:35]
	;; [unrolled: 1-line block ×3, first 2 shown]
	v_lshlrev_b64 v[22:23], 3, v[56:57]
	v_fma_f64 v[77:78], v[64:65], v[42:43], 1.0
	v_mul_f64 v[64:65], v[68:69], v[2:3]
	v_add_co_u32 v42, vcc_lo, s16, v22
	v_add_co_ci_u32_e64 v43, null, s17, v23, vcc_lo
	v_cmp_nlt_f64_e32 vcc_lo, 0x40900000, v[32:33]
	global_load_dwordx2 v[42:43], v[42:43], off
	v_fma_f64 v[66:67], v[52:53], v[70:71], 1.0
	v_add_nc_u32_e32 v70, 0x7fe90, v1
	v_fma_f64 v[68:69], v[60:61], v[73:74], s[36:37]
	v_fma_f64 v[56:57], v[62:63], v[75:76], s[30:31]
	v_ashrrev_i32_e32 v71, 31, v70
	v_cvt_i32_f64_e32 v74, v[20:21]
	v_cvt_f32_f64_e32 v73, v[64:65]
	v_ldexp_f64 v[58:59], v[77:78], v80
	v_cvt_i32_f64_e32 v77, v[18:19]
	v_cndmask_b32_e32 v45, 0x7ff00000, v45, vcc_lo
	s_and_b32 vcc_lo, s0, vcc_lo
	v_fma_f64 v[66:67], v[52:53], v[66:67], 1.0
	v_lshlrev_b64 v[52:53], 3, v[70:71]
	v_fma_f64 v[64:65], v[60:61], v[68:69], s[38:39]
	v_fma_f64 v[68:69], v[62:63], v[56:57], s[34:35]
	v_add_co_u32 v32, s3, s16, v52
	v_add_co_ci_u32_e64 v33, null, s17, v53, s3
	v_add_co_u32 v40, s3, s14, v4
	v_add_co_ci_u32_e64 v41, null, s15, v5, s3
	s_waitcnt vmcnt(4)
	v_mul_f64 v[4:5], v[48:49], s[10:11]
	global_load_dwordx2 v[56:57], v[32:33], off
	v_sub_f32_e32 v70, v72, v73
	v_cmp_eq_u32_e64 s3, 49, v0
	v_cndmask_b32_e64 v59, 0x7ff00000, v59, s1
	s_and_b32 s1, s2, s1
	v_fma_f64 v[32:33], v[62:63], v[68:69], s[36:37]
	v_fma_f64 v[68:69], v[60:61], v[64:65], s[40:41]
	v_cndmask_b32_e64 v64, -v73, v70, s3
	v_cvt_f64_f32_e32 v[70:71], v64
	v_rndne_f64_e32 v[4:5], v[4:5]
	v_fma_f64 v[32:33], v[62:63], v[32:33], s[38:39]
	global_store_dwordx2 v[40:41], v[70:71], off
	v_fma_f64 v[70:71], v[4:5], s[12:13], v[48:49]
	s_waitcnt vmcnt(3)
	v_mul_f64 v[20:21], v[46:47], s[10:11]
	v_rndne_f64_e32 v[64:65], v[20:21]
	v_ldexp_f64 v[20:21], v[66:67], v74
	v_fma_f64 v[66:67], v[60:61], v[68:69], 1.0
	v_cndmask_b32_e32 v68, 0, v44, vcc_lo
	v_add_nc_u32_e32 v44, 0x820ac, v1
	v_cndmask_b32_e64 v69, 0, v45, s0
	v_fma_f64 v[73:74], v[62:63], v[32:33], s[40:41]
	v_cmp_nlt_f64_e32 vcc_lo, 0x40900000, v[30:31]
	v_cmp_ngt_f64_e64 s0, 0xc090cc00, v[30:31]
	v_ashrrev_i32_e32 v45, 31, v44
	v_cndmask_b32_e64 v30, 0, v58, s1
	v_cndmask_b32_e64 v31, 0, v59, s2
	v_cmp_ngt_f64_e64 s2, 0xc090cc00, v[54:55]
	v_lshlrev_b64 v[44:45], 3, v[44:45]
	v_mul_f64 v[30:31], v[30:31], v[2:3]
	v_add_co_u32 v32, s1, s16, v44
	v_fma_f64 v[40:41], v[64:65], s[12:13], v[46:47]
	v_add_co_ci_u32_e64 v33, null, s17, v45, s1
	v_fma_f64 v[75:76], v[60:61], v[66:67], 1.0
	v_mul_f64 v[60:61], v[38:39], s[10:11]
	v_fma_f64 v[66:67], v[4:5], s[18:19], v[70:71]
	global_load_dwordx2 v[58:59], v[32:33], off
	v_fma_f64 v[18:19], v[62:63], v[73:74], 1.0
	v_cndmask_b32_e32 v21, 0x7ff00000, v21, vcc_lo
	s_and_b32 vcc_lo, s0, vcc_lo
	v_cmp_eq_u32_e64 s1, 50, v0
	v_cndmask_b32_e32 v20, 0, v20, vcc_lo
	v_cndmask_b32_e64 v21, 0, v21, s0
	v_cmp_ngt_f64_e64 s0, 0xc090cc00, v[50:51]
	v_mul_f64 v[20:21], v[20:21], v[2:3]
	v_fma_f64 v[32:33], v[64:65], s[18:19], v[40:41]
	v_mul_f64 v[40:41], v[68:69], v[2:3]
	v_rndne_f64_e32 v[60:61], v[60:61]
	v_fma_f64 v[70:71], v[66:67], s[22:23], s[20:21]
	v_fma_f64 v[18:19], v[62:63], v[18:19], 1.0
	v_cvt_i32_f64_e32 v62, v[28:29]
	v_add_co_u32 v28, vcc_lo, s14, v14
	v_add_co_ci_u32_e64 v29, null, s15, v15, vcc_lo
	v_cmp_nlt_f64_e32 vcc_lo, 0x40900000, v[50:51]
	v_fma_f64 v[68:69], v[32:33], s[22:23], s[20:21]
	v_cvt_f32_f64_e32 v78, v[40:41]
	v_ldexp_f64 v[40:41], v[75:76], v77
	v_cvt_i32_f64_e32 v77, v[64:65]
	v_fma_f64 v[14:15], v[60:61], s[12:13], v[38:39]
	v_fma_f64 v[70:71], v[66:67], v[70:71], s[24:25]
	v_ldexp_f64 v[73:74], v[18:19], v62
	v_fma_f64 v[68:69], v[32:33], v[68:69], s[24:25]
	v_sub_f32_e32 v75, v72, v78
	v_cndmask_b32_e32 v41, 0x7ff00000, v41, vcc_lo
	s_and_b32 vcc_lo, s0, vcc_lo
	v_fma_f64 v[62:63], v[60:61], s[18:19], v[14:15]
	s_waitcnt vmcnt(3)
	v_mul_f64 v[14:15], v[6:7], s[10:11]
	v_cndmask_b32_e64 v50, -v78, v75, s1
	v_cmp_nlt_f64_e64 s1, 0x40900000, v[54:55]
	v_add_nc_u32_e32 v54, 0x842c8, v1
	v_cvt_f32_f64_e32 v75, v[20:21]
	v_cvt_f64_f32_e32 v[50:51], v50
	v_ashrrev_i32_e32 v55, 31, v54
	v_fma_f64 v[18:19], v[32:33], v[68:69], s[26:27]
	v_fma_f64 v[68:69], v[66:67], v[70:71], s[26:27]
	v_cvt_f32_f64_e32 v70, v[30:31]
	v_fma_f64 v[30:31], v[62:63], s[22:23], s[20:21]
	v_rndne_f64_e32 v[14:15], v[14:15]
	v_cndmask_b32_e64 v71, 0x7ff00000, v74, s1
	global_store_dwordx2 v[28:29], v[50:51], off
	v_add_co_u32 v50, s3, s14, v16
	v_cndmask_b32_e32 v16, 0, v40, vcc_lo
	v_cmp_eq_u32_e32 vcc_lo, 51, v0
	v_add_co_ci_u32_e64 v51, null, s15, v17, s3
	v_cndmask_b32_e64 v17, 0, v41, s0
	v_cmp_ngt_f64_e64 s0, 0xc090cc00, v[46:47]
	v_fma_f64 v[18:19], v[32:33], v[18:19], s[28:29]
	v_fma_f64 v[28:29], v[66:67], v[68:69], s[28:29]
	v_sub_f32_e32 v68, v72, v70
	v_fma_f64 v[30:31], v[62:63], v[30:31], s[24:25]
	v_fma_f64 v[40:41], v[14:15], s[12:13], v[6:7]
	v_cndmask_b32_e64 v74, -v70, v68, vcc_lo
	s_and_b32 vcc_lo, s2, s1
	v_cmp_nlt_f64_e64 s1, 0x40900000, v[48:49]
	v_cvt_f64_f32_e32 v[20:21], v74
	v_fma_f64 v[68:69], v[32:33], v[18:19], s[30:31]
	v_lshlrev_b64 v[18:19], 3, v[54:55]
	v_cndmask_b32_e64 v55, 0, v71, s2
	v_fma_f64 v[70:71], v[66:67], v[28:29], s[30:31]
	v_fma_f64 v[30:31], v[62:63], v[30:31], s[26:27]
	v_cndmask_b32_e32 v54, 0, v73, vcc_lo
	v_mul_f64 v[73:74], v[16:17], v[2:3]
	v_fma_f64 v[16:17], v[14:15], s[18:19], v[40:41]
	v_add_co_u32 v28, vcc_lo, s16, v18
	v_add_co_ci_u32_e64 v29, null, s17, v19, vcc_lo
	v_cmp_eq_u32_e32 vcc_lo, 52, v0
	global_store_dwordx2 v[50:51], v[20:21], off
	v_mul_f64 v[20:21], v[54:55], v[2:3]
	v_cmp_ngt_f64_e64 s2, 0xc090cc00, v[48:49]
	v_fma_f64 v[40:41], v[32:33], v[68:69], s[34:35]
	v_fma_f64 v[68:69], v[66:67], v[70:71], s[34:35]
	v_sub_f32_e32 v70, v72, v75
	v_fma_f64 v[30:31], v[62:63], v[30:31], s[28:29]
	v_cvt_f32_f64_e32 v73, v[73:74]
	v_fma_f64 v[50:51], v[16:17], s[22:23], s[20:21]
	v_cndmask_b32_e64 v54, -v75, v70, vcc_lo
	v_add_nc_u32_e32 v70, 0x864e4, v1
	v_add_co_u32 v12, vcc_lo, s14, v12
	v_add_co_ci_u32_e64 v13, null, s15, v13, vcc_lo
	v_cvt_f64_f32_e32 v[54:55], v54
	v_ashrrev_i32_e32 v71, 31, v70
	v_cvt_f32_f64_e32 v74, v[20:21]
	v_cmp_eq_u32_e32 vcc_lo, 53, v0
	v_fma_f64 v[40:41], v[32:33], v[40:41], s[36:37]
	v_fma_f64 v[68:69], v[66:67], v[68:69], s[36:37]
	v_fma_f64 v[20:21], v[62:63], v[30:31], s[30:31]
	v_lshlrev_b64 v[30:31], 3, v[70:71]
	v_sub_f32_e32 v75, v72, v73
	v_fma_f64 v[50:51], v[16:17], v[50:51], s[24:25]
	v_cndmask_b32_e64 v73, -v73, v75, vcc_lo
	global_store_dwordx2 v[12:13], v[54:55], off
	v_add_co_u32 v54, vcc_lo, s16, v30
	v_add_co_ci_u32_e64 v55, null, s17, v31, vcc_lo
	v_cvt_f64_f32_e32 v[12:13], v73
	v_add_co_u32 v24, vcc_lo, s14, v24
	v_fma_f64 v[70:71], v[32:33], v[40:41], s[38:39]
	s_clause 0x1
	global_load_dwordx2 v[40:41], v[54:55], off
	global_load_dwordx2 v[28:29], v[28:29], off
	v_fma_f64 v[68:69], v[66:67], v[68:69], s[38:39]
	v_fma_f64 v[20:21], v[62:63], v[20:21], s[34:35]
	v_add_co_ci_u32_e64 v25, null, s15, v25, vcc_lo
	v_sub_f32_e32 v54, v72, v74
	v_cmp_eq_u32_e32 vcc_lo, 54, v0
	v_fma_f64 v[50:51], v[16:17], v[50:51], s[26:27]
	v_cndmask_b32_e64 v54, -v74, v54, vcc_lo
	global_store_dwordx2 v[24:25], v[12:13], off
	v_cvt_f64_f32_e32 v[12:13], v54
	v_add_co_u32 v24, vcc_lo, s14, v36
	v_add_co_ci_u32_e64 v25, null, s15, v37, vcc_lo
	v_fma_f64 v[54:55], v[66:67], v[68:69], s[40:41]
	s_waitcnt vmcnt(4)
	v_mul_f64 v[68:69], v[42:43], s[10:11]
	v_fma_f64 v[36:37], v[32:33], v[70:71], s[40:41]
	v_add_nc_u32_e32 v70, 0x88700, v1
	v_fma_f64 v[73:74], v[62:63], v[20:21], s[36:37]
	v_fma_f64 v[50:51], v[16:17], v[50:51], s[28:29]
	v_ashrrev_i32_e32 v71, 31, v70
	v_lshlrev_b64 v[20:21], 3, v[70:71]
	global_store_dwordx2 v[24:25], v[12:13], off
	v_add_co_u32 v24, vcc_lo, s16, v20
	v_add_co_ci_u32_e64 v25, null, s17, v21, vcc_lo
	v_rndne_f64_e32 v[12:13], v[68:69]
	v_fma_f64 v[70:71], v[32:33], v[36:37], 1.0
	v_fma_f64 v[54:55], v[66:67], v[54:55], 1.0
	global_load_dwordx2 v[36:37], v[24:25], off
	v_fma_f64 v[24:25], v[62:63], v[73:74], s[38:39]
	v_fma_f64 v[50:51], v[16:17], v[50:51], s[30:31]
	v_add_nc_u32_e32 v68, 0x8a91c, v1
	v_ashrrev_i32_e32 v69, 31, v68
	v_fma_f64 v[73:74], v[12:13], s[12:13], v[42:43]
	v_fma_f64 v[70:71], v[32:33], v[70:71], 1.0
	v_fma_f64 v[75:76], v[66:67], v[54:55], 1.0
	s_waitcnt vmcnt(4)
	v_mul_f64 v[54:55], v[56:57], s[10:11]
	v_fma_f64 v[24:25], v[62:63], v[24:25], s[40:41]
	v_lshlrev_b64 v[32:33], 3, v[68:69]
	v_fma_f64 v[68:69], v[16:17], v[50:51], s[34:35]
	v_add_co_u32 v50, vcc_lo, s16, v32
	v_add_co_ci_u32_e64 v51, null, s17, v33, vcc_lo
	v_cmp_nlt_f64_e32 vcc_lo, 0x40900000, v[46:47]
	global_load_dwordx2 v[50:51], v[50:51], off
	v_fma_f64 v[66:67], v[12:13], s[18:19], v[73:74]
	v_cvt_i32_f64_e32 v73, v[4:5]
	v_ldexp_f64 v[4:5], v[70:71], v77
	v_rndne_f64_e32 v[54:55], v[54:55]
	v_fma_f64 v[24:25], v[62:63], v[24:25], 1.0
	v_fma_f64 v[64:65], v[16:17], v[68:69], s[36:37]
	v_fma_f64 v[68:69], v[66:67], s[22:23], s[20:21]
	v_ldexp_f64 v[70:71], v[75:76], v73
	v_cvt_i32_f64_e32 v73, v[60:61]
	v_cndmask_b32_e32 v5, 0x7ff00000, v5, vcc_lo
	v_fma_f64 v[24:25], v[62:63], v[24:25], 1.0
	v_fma_f64 v[62:63], v[54:55], s[12:13], v[56:57]
	v_fma_f64 v[64:65], v[16:17], v[64:65], s[38:39]
	s_and_b32 vcc_lo, s0, vcc_lo
	s_waitcnt vmcnt(4)
	v_mul_f64 v[46:47], v[58:59], s[10:11]
	v_fma_f64 v[68:69], v[66:67], v[68:69], s[24:25]
	v_cndmask_b32_e64 v71, 0x7ff00000, v71, s1
	v_ldexp_f64 v[48:49], v[24:25], v73
	v_fma_f64 v[60:61], v[54:55], s[18:19], v[62:63]
	v_fma_f64 v[62:63], v[16:17], v[64:65], s[40:41]
	v_cndmask_b32_e64 v71, 0, v71, s2
	v_rndne_f64_e32 v[24:25], v[46:47]
	v_fma_f64 v[46:47], v[66:67], v[68:69], s[26:27]
	v_cndmask_b32_e32 v68, 0, v4, vcc_lo
	s_and_b32 vcc_lo, s2, s1
	v_cndmask_b32_e64 v69, 0, v5, s0
	v_cndmask_b32_e32 v70, 0, v70, vcc_lo
	v_fma_f64 v[64:65], v[60:61], s[22:23], s[20:21]
	v_fma_f64 v[62:63], v[16:17], v[62:63], 1.0
	v_cmp_nlt_f64_e32 vcc_lo, 0x40900000, v[38:39]
	v_cmp_ngt_f64_e64 s0, 0xc090cc00, v[38:39]
	v_add_nc_u32_e32 v4, 0x8cb38, v1
	v_mul_f64 v[68:69], v[68:69], v[2:3]
	v_fma_f64 v[38:39], v[24:25], s[12:13], v[58:59]
	v_ashrrev_i32_e32 v5, 31, v4
	v_lshlrev_b64 v[4:5], 3, v[4:5]
	v_fma_f64 v[73:74], v[66:67], v[46:47], s[28:29]
	v_add_co_u32 v46, s1, s16, v4
	v_fma_f64 v[64:65], v[60:61], v[64:65], s[24:25]
	v_fma_f64 v[16:17], v[16:17], v[62:63], 1.0
	v_add_co_ci_u32_e64 v47, null, s17, v5, s1
	v_cndmask_b32_e32 v49, 0x7ff00000, v49, vcc_lo
	s_and_b32 vcc_lo, s0, vcc_lo
	v_cmp_eq_u32_e64 s1, 56, v0
	global_load_dwordx2 v[46:47], v[46:47], off
	v_fma_f64 v[62:63], v[24:25], s[18:19], v[38:39]
	v_cndmask_b32_e32 v48, 0, v48, vcc_lo
	v_cmp_eq_u32_e32 vcc_lo, 55, v0
	v_cndmask_b32_e64 v49, 0, v49, s0
	v_cmp_ngt_f64_e64 s0, 0xc090cc00, v[6:7]
	v_mul_f64 v[48:49], v[48:49], v[2:3]
	v_fma_f64 v[38:39], v[66:67], v[73:74], s[30:31]
	v_cvt_f32_f64_e32 v73, v[68:69]
	v_cvt_i32_f64_e32 v74, v[14:15]
	v_mul_f64 v[68:69], v[70:71], v[2:3]
	v_fma_f64 v[64:65], v[60:61], v[64:65], s[26:27]
	v_fma_f64 v[14:15], v[62:63], s[22:23], s[20:21]
	;; [unrolled: 1-line block ×3, first 2 shown]
	v_sub_f32_e32 v70, v72, v73
	v_ldexp_f64 v[16:17], v[16:17], v74
	v_cvt_f32_f64_e32 v74, v[68:69]
	v_fma_f64 v[64:65], v[60:61], v[64:65], s[28:29]
	v_cndmask_b32_e64 v70, -v73, v70, vcc_lo
	v_cmp_nlt_f64_e32 vcc_lo, 0x40900000, v[6:7]
	v_cvt_f64_f32_e32 v[6:7], v70
	v_fma_f64 v[14:15], v[62:63], v[14:15], s[24:25]
	v_fma_f64 v[38:39], v[66:67], v[38:39], s[36:37]
	;; [unrolled: 1-line block ×3, first 2 shown]
	v_cndmask_b32_e32 v17, 0x7ff00000, v17, vcc_lo
	s_and_b32 vcc_lo, s0, vcc_lo
	v_cndmask_b32_e32 v16, 0, v16, vcc_lo
	v_cndmask_b32_e64 v17, 0, v17, s0
	v_fma_f64 v[14:15], v[62:63], v[14:15], s[26:27]
	v_cmp_ngt_f64_e64 s0, 0xc090cc00, v[42:43]
	v_mul_f64 v[16:17], v[16:17], v[2:3]
	v_fma_f64 v[70:71], v[66:67], v[38:39], s[38:39]
	v_sub_f32_e32 v38, v72, v74
	v_fma_f64 v[64:65], v[60:61], v[64:65], s[34:35]
	v_cndmask_b32_e64 v73, -v74, v38, s1
	v_add_co_u32 v26, s1, s14, v26
	v_cvt_f32_f64_e32 v74, v[48:49]
	v_add_co_ci_u32_e64 v27, null, s15, v27, s1
	v_cvt_f64_f32_e32 v[48:49], v73
	v_fma_f64 v[14:15], v[62:63], v[14:15], s[28:29]
	v_add_co_u32 v34, s1, s14, v34
	global_store_dwordx2 v[26:27], v[6:7], off
	v_add_nc_u32_e32 v26, 0x8ed54, v1
	v_add_co_ci_u32_e64 v35, null, s15, v35, s1
	v_fma_f64 v[6:7], v[66:67], v[70:71], s[40:41]
	v_ashrrev_i32_e32 v27, 31, v26
	v_fma_f64 v[64:65], v[60:61], v[64:65], s[36:37]
	v_sub_f32_e32 v73, v72, v74
	v_fma_f64 v[75:76], v[66:67], v[6:7], 1.0
	v_add_nc_u32_e32 v6, 0x90f70, v1
	v_ashrrev_i32_e32 v7, 31, v6
	s_waitcnt vmcnt(4)
	v_cmp_ngt_f64_e64 s2, 0xc090cc00, v[40:41]
	s_waitcnt vmcnt(3)
	v_mul_f64 v[68:69], v[28:29], s[10:11]
	v_lshlrev_b64 v[6:7], 3, v[6:7]
	v_fma_f64 v[66:67], v[66:67], v[75:76], 1.0
	v_cvt_i32_f64_e32 v76, v[54:55]
	v_rndne_f64_e32 v[38:39], v[68:69]
	v_add_co_u32 v68, vcc_lo, s14, v8
	v_add_co_ci_u32_e64 v69, null, s15, v9, vcc_lo
	v_cmp_eq_u32_e32 vcc_lo, 57, v0
	v_lshlrev_b64 v[8:9], 3, v[26:27]
	v_fma_f64 v[26:27], v[62:63], v[14:15], s[30:31]
	global_store_dwordx2 v[68:69], v[48:49], off
	v_mul_f64 v[68:69], v[40:41], s[10:11]
	v_cndmask_b32_e64 v77, -v74, v73, vcc_lo
	v_fma_f64 v[73:74], v[60:61], v[64:65], s[38:39]
	v_add_co_u32 v14, vcc_lo, s16, v8
	v_add_co_ci_u32_e64 v15, null, s17, v9, vcc_lo
	v_cvt_f64_f32_e32 v[48:49], v77
	v_cvt_f32_f64_e32 v77, v[16:17]
	v_add_co_u32 v10, vcc_lo, s14, v10
	v_add_co_ci_u32_e64 v11, null, s15, v11, vcc_lo
	v_fma_f64 v[70:71], v[38:39], s[12:13], v[28:29]
	global_load_dwordx2 v[14:15], v[14:15], off
	v_fma_f64 v[16:17], v[62:63], v[26:27], s[34:35]
	v_rndne_f64_e32 v[26:27], v[68:69]
	global_store_dwordx2 v[10:11], v[48:49], off
	v_add_co_u32 v10, vcc_lo, s16, v6
	v_add_co_ci_u32_e64 v11, null, s17, v7, vcc_lo
	v_sub_f32_e32 v68, v72, v77
	v_fma_f64 v[64:65], v[38:39], s[18:19], v[70:71]
	v_fma_f64 v[70:71], v[60:61], v[73:74], s[40:41]
	v_cvt_i32_f64_e32 v73, v[12:13]
	v_cmp_eq_u32_e32 vcc_lo, 58, v0
	v_fma_f64 v[48:49], v[62:63], v[16:17], s[36:37]
	global_load_dwordx2 v[16:17], v[10:11], off
	v_cndmask_b32_e64 v75, -v77, v68, vcc_lo
	s_waitcnt vmcnt(4)
	v_mul_f64 v[68:69], v[36:37], s[10:11]
	v_cmp_nlt_f64_e32 vcc_lo, 0x40900000, v[42:43]
	s_waitcnt vmcnt(3)
	v_mul_f64 v[42:43], v[50:51], s[10:11]
	v_fma_f64 v[12:13], v[64:65], s[22:23], s[20:21]
	v_fma_f64 v[10:11], v[60:61], v[70:71], 1.0
	v_ldexp_f64 v[66:67], v[66:67], v73
	v_fma_f64 v[70:71], v[26:27], s[12:13], v[40:41]
	v_fma_f64 v[73:74], v[62:63], v[48:49], s[38:39]
	v_rndne_f64_e32 v[48:49], v[68:69]
	v_fma_f64 v[12:13], v[64:65], v[12:13], s[24:25]
	v_fma_f64 v[10:11], v[60:61], v[10:11], 1.0
	v_cvt_f64_f32_e32 v[60:61], v75
	v_fma_f64 v[54:55], v[26:27], s[18:19], v[70:71]
	v_cndmask_b32_e32 v71, 0x7ff00000, v67, vcc_lo
	s_and_b32 vcc_lo, s0, vcc_lo
	v_fma_f64 v[67:68], v[62:63], v[73:74], s[40:41]
	v_fma_f64 v[12:13], v[64:65], v[12:13], s[26:27]
	v_ldexp_f64 v[10:11], v[10:11], v76
	global_store_dwordx2 v[34:35], v[60:61], off
	v_fma_f64 v[34:35], v[48:49], s[12:13], v[36:37]
	v_fma_f64 v[69:70], v[54:55], s[22:23], s[20:21]
	v_rndne_f64_e32 v[60:61], v[42:43]
	v_fma_f64 v[67:68], v[62:63], v[67:68], 1.0
	v_fma_f64 v[73:74], v[64:65], v[12:13], s[28:29]
	v_cndmask_b32_e32 v12, 0, v66, vcc_lo
	v_cmp_nlt_f64_e32 vcc_lo, 0x40900000, v[56:57]
	v_cndmask_b32_e64 v13, 0, v71, s0
	v_cmp_ngt_f64_e64 s0, 0xc090cc00, v[56:57]
	v_fma_f64 v[42:43], v[48:49], s[18:19], v[34:35]
	v_fma_f64 v[34:35], v[54:55], v[69:70], s[24:25]
	v_fma_f64 v[62:63], v[62:63], v[67:68], 1.0
	v_mul_f64 v[75:76], v[12:13], v[2:3]
	v_fma_f64 v[68:69], v[60:61], s[12:13], v[50:51]
	v_add_nc_u32_e32 v12, 0x9318c, v1
	v_ashrrev_i32_e32 v13, 31, v12
	v_lshlrev_b64 v[12:13], 3, v[12:13]
	v_fma_f64 v[56:57], v[64:65], v[73:74], s[30:31]
	v_cvt_i32_f64_e32 v73, v[24:25]
	v_cndmask_b32_e32 v11, 0x7ff00000, v11, vcc_lo
	s_and_b32 vcc_lo, s0, vcc_lo
	v_add_co_u32 v66, s1, s16, v12
	v_cndmask_b32_e64 v11, 0, v11, s0
	v_cndmask_b32_e32 v10, 0, v10, vcc_lo
	v_cvt_f32_f64_e32 v74, v[75:76]
	v_fma_f64 v[34:35], v[54:55], v[34:35], s[26:27]
	v_cmp_eq_u32_e32 vcc_lo, 59, v0
	v_add_co_ci_u32_e64 v67, null, s17, v13, s1
	v_mul_f64 v[10:11], v[10:11], v[2:3]
	v_cmp_ngt_f64_e64 s0, 0xc090cc00, v[58:59]
	v_cmp_eq_u32_e64 s1, 60, v0
	global_load_dwordx2 v[24:25], v[66:67], off
	v_fma_f64 v[70:71], v[64:65], v[56:57], s[34:35]
	v_ldexp_f64 v[62:63], v[62:63], v73
	v_fma_f64 v[56:57], v[60:61], s[18:19], v[68:69]
	v_sub_f32_e32 v68, v72, v74
	v_fma_f64 v[34:35], v[54:55], v[34:35], s[28:29]
	v_cvt_f32_f64_e32 v73, v[10:11]
	v_cndmask_b32_e64 v68, -v74, v68, vcc_lo
	v_add_co_u32 v22, vcc_lo, s14, v22
	v_add_co_ci_u32_e64 v23, null, s15, v23, vcc_lo
	v_cvt_f64_f32_e32 v[68:69], v68
	v_cmp_nlt_f64_e32 vcc_lo, 0x40900000, v[58:59]
	v_fma_f64 v[10:11], v[64:65], v[70:71], s[36:37]
	v_fma_f64 v[58:59], v[56:57], s[22:23], s[20:21]
	;; [unrolled: 1-line block ×3, first 2 shown]
	v_sub_f32_e32 v70, v72, v73
	v_cndmask_b32_e64 v70, -v73, v70, s1
	global_store_dwordx2 v[22:23], v[68:69], off
	v_cndmask_b32_e32 v63, 0x7ff00000, v63, vcc_lo
	v_fma_f64 v[10:11], v[64:65], v[10:11], s[38:39]
	s_and_b32 vcc_lo, s0, vcc_lo
	v_cvt_f64_f32_e32 v[68:69], v70
	s_waitcnt vmcnt(3)
	v_mul_f64 v[70:71], v[46:47], s[10:11]
	v_fma_f64 v[58:59], v[56:57], v[58:59], s[24:25]
	v_cndmask_b32_e64 v63, 0, v63, s0
	v_cndmask_b32_e32 v62, 0, v62, vcc_lo
	v_add_nc_u32_e32 v22, 0x953a8, v1
	v_add_co_u32 v52, s1, s14, v52
	v_fma_f64 v[34:35], v[54:55], v[34:35], s[34:35]
	v_mul_f64 v[73:74], v[62:63], v[2:3]
	v_ashrrev_i32_e32 v23, 31, v22
	v_add_co_ci_u32_e64 v53, null, s15, v53, s1
	v_cmp_ngt_f64_e64 s0, 0xc090cc00, v[28:29]
	v_lshlrev_b64 v[22:23], 3, v[22:23]
	v_fma_f64 v[10:11], v[64:65], v[10:11], s[40:41]
	global_store_dwordx2 v[52:53], v[68:69], off
	v_rndne_f64_e32 v[62:63], v[70:71]
	v_add_nc_u32_e32 v70, 0x975c4, v1
	v_fma_f64 v[52:53], v[56:57], v[58:59], s[26:27]
	v_add_co_u32 v58, vcc_lo, s16, v22
	v_add_co_ci_u32_e64 v59, null, s17, v23, vcc_lo
	v_ashrrev_i32_e32 v71, 31, v70
	v_add_co_u32 v44, vcc_lo, s14, v44
	v_add_co_ci_u32_e64 v45, null, s15, v45, vcc_lo
	v_fma_f64 v[68:69], v[54:55], v[34:35], s[36:37]
	v_cvt_f32_f64_e32 v73, v[73:74]
	v_cvt_i32_f64_e32 v74, v[38:39]
	v_fma_f64 v[10:11], v[64:65], v[10:11], 1.0
	v_fma_f64 v[52:53], v[56:57], v[52:53], s[28:29]
	v_fma_f64 v[68:69], v[54:55], v[68:69], s[38:39]
	v_fma_f64 v[64:65], v[64:65], v[10:11], 1.0
	v_lshlrev_b64 v[10:11], 3, v[70:71]
	v_fma_f64 v[52:53], v[56:57], v[52:53], s[30:31]
	v_add_co_u32 v70, vcc_lo, s16, v10
	v_add_co_ci_u32_e64 v71, null, s17, v11, vcc_lo
	v_cmp_eq_u32_e32 vcc_lo, 61, v0
	s_clause 0x1
	global_load_dwordx2 v[38:39], v[70:71], off
	global_load_dwordx2 v[34:35], v[58:59], off
	v_fma_f64 v[66:67], v[42:43], s[22:23], s[20:21]
	v_fma_f64 v[68:69], v[54:55], v[68:69], s[40:41]
	v_sub_f32_e32 v70, v72, v73
	v_ldexp_f64 v[64:65], v[64:65], v74
	v_cndmask_b32_e64 v73, -v73, v70, vcc_lo
	v_cmp_nlt_f64_e32 vcc_lo, 0x40900000, v[28:29]
	v_fma_f64 v[52:53], v[56:57], v[52:53], s[34:35]
	v_fma_f64 v[66:67], v[42:43], v[66:67], s[24:25]
	v_fma_f64 v[68:69], v[54:55], v[68:69], 1.0
	v_cndmask_b32_e32 v75, 0x7ff00000, v65, vcc_lo
	s_and_b32 vcc_lo, s0, vcc_lo
	v_fma_f64 v[52:53], v[56:57], v[52:53], s[36:37]
	v_fma_f64 v[66:67], v[42:43], v[66:67], s[26:27]
	v_fma_f64 v[54:55], v[54:55], v[68:69], 1.0
	v_cvt_f64_f32_e32 v[68:69], v73
	v_cvt_i32_f64_e32 v73, v[26:27]
	s_waitcnt vmcnt(4)
	v_mul_f64 v[26:27], v[14:15], s[10:11]
	v_fma_f64 v[52:53], v[56:57], v[52:53], s[38:39]
	v_fma_f64 v[66:67], v[42:43], v[66:67], s[28:29]
	global_store_dwordx2 v[44:45], v[68:69], off
	v_ldexp_f64 v[68:69], v[54:55], v73
	v_rndne_f64_e32 v[44:45], v[26:27]
	v_add_nc_u32_e32 v26, 0x997e0, v1
	v_ashrrev_i32_e32 v27, 31, v26
	v_fma_f64 v[52:53], v[56:57], v[52:53], s[40:41]
	v_lshlrev_b64 v[26:27], 3, v[26:27]
	v_add_co_u32 v28, s1, s16, v26
	v_fma_f64 v[66:67], v[42:43], v[66:67], s[30:31]
	v_add_co_ci_u32_e64 v29, null, s17, v27, s1
	v_cmp_nlt_f64_e64 s1, 0x40900000, v[40:41]
	v_fma_f64 v[73:74], v[44:45], s[12:13], v[14:15]
	v_fma_f64 v[40:41], v[56:57], v[52:53], 1.0
	v_cndmask_b32_e64 v53, 0, v75, s0
	v_cndmask_b32_e32 v52, 0, v64, vcc_lo
	v_add_nc_u32_e32 v64, 0x9b9fc, v1
	v_cmp_ngt_f64_e64 s0, 0xc090cc00, v[36:37]
	v_mul_f64 v[52:53], v[52:53], v[2:3]
	v_fma_f64 v[66:67], v[42:43], v[66:67], s[34:35]
	v_cndmask_b32_e64 v76, 0x7ff00000, v69, s1
	v_add_co_u32 v69, vcc_lo, s14, v18
	v_fma_f64 v[40:41], v[56:57], v[40:41], 1.0
	v_fma_f64 v[66:67], v[42:43], v[66:67], s[36:37]
	v_fma_f64 v[66:67], v[42:43], v[66:67], s[38:39]
	;; [unrolled: 1-line block ×3, first 2 shown]
	v_fma_f64 v[66:67], v[42:43], v[66:67], 1.0
	v_fma_f64 v[65:66], v[42:43], v[66:67], 1.0
	global_load_dwordx2 v[42:43], v[28:29], off
	v_fma_f64 v[58:59], v[62:63], s[12:13], v[46:47]
	v_cvt_i32_f64_e32 v67, v[48:49]
	v_fma_f64 v[58:59], v[62:63], s[18:19], v[58:59]
	v_ldexp_f64 v[66:67], v[65:66], v67
	v_ashrrev_i32_e32 v65, 31, v64
	v_fma_f64 v[70:71], v[58:59], s[22:23], s[20:21]
	v_fma_f64 v[70:71], v[58:59], v[70:71], s[24:25]
	;; [unrolled: 1-line block ×4, first 2 shown]
	s_waitcnt vmcnt(4)
	v_mul_f64 v[70:71], v[16:17], s[10:11]
	v_fma_f64 v[28:29], v[58:59], v[54:55], s[30:31]
	v_rndne_f64_e32 v[48:49], v[70:71]
	v_add_co_ci_u32_e64 v70, null, s15, v19, vcc_lo
	s_and_b32 vcc_lo, s2, s1
	v_fma_f64 v[54:55], v[44:45], s[18:19], v[73:74]
	v_cndmask_b32_e32 v73, 0, v68, vcc_lo
	v_cvt_f32_f64_e32 v68, v[52:53]
	v_lshlrev_b64 v[18:19], 3, v[64:65]
	v_cndmask_b32_e64 v74, 0, v76, s2
	v_cmp_eq_u32_e64 s1, 62, v0
	s_waitcnt vmcnt(2)
	v_cmp_ngt_f64_e64 s2, 0xc090cc00, v[38:39]
	v_add_co_u32 v64, vcc_lo, s16, v18
	v_add_co_ci_u32_e64 v65, null, s17, v19, vcc_lo
	v_cmp_nlt_f64_e32 vcc_lo, 0x40900000, v[36:37]
	v_mul_f64 v[52:53], v[73:74], v[2:3]
	v_cvt_i32_f64_e32 v73, v[60:61]
	global_load_dwordx2 v[36:37], v[64:65], off
	v_fma_f64 v[28:29], v[58:59], v[28:29], s[34:35]
	v_fma_f64 v[56:57], v[48:49], s[12:13], v[16:17]
	v_sub_f32_e32 v71, v72, v68
	v_cndmask_b32_e64 v68, -v68, v71, s1
	v_cmp_eq_u32_e64 s1, 63, v0
	v_cndmask_b32_e32 v67, 0x7ff00000, v67, vcc_lo
	v_cvt_f32_f64_e32 v71, v[52:53]
	v_ldexp_f64 v[40:41], v[40:41], v73
	v_cvt_f64_f32_e32 v[73:74], v68
	v_fma_f64 v[28:29], v[58:59], v[28:29], s[36:37]
	s_and_b32 vcc_lo, s0, vcc_lo
	v_cndmask_b32_e64 v67, 0, v67, s0
	v_cndmask_b32_e32 v66, 0, v66, vcc_lo
	v_cmp_nlt_f64_e32 vcc_lo, 0x40900000, v[50:51]
	v_cmp_ngt_f64_e64 s0, 0xc090cc00, v[50:51]
	v_fma_f64 v[56:57], v[48:49], s[18:19], v[56:57]
	v_mul_f64 v[52:53], v[24:25], s[10:11]
	v_mul_f64 v[66:67], v[66:67], v[2:3]
	v_sub_f32_e32 v68, v72, v71
	global_store_dwordx2 v[69:70], v[73:74], off
	v_fma_f64 v[28:29], v[58:59], v[28:29], s[38:39]
	v_add_nc_u32_e32 v70, 0x9dc18, v1
	v_cndmask_b32_e64 v68, -v71, v68, s1
	v_cvt_i32_f64_e32 v74, v[62:63]
	v_cndmask_b32_e32 v41, 0x7ff00000, v41, vcc_lo
	s_and_b32 vcc_lo, s0, vcc_lo
	v_ashrrev_i32_e32 v71, 31, v70
	v_cndmask_b32_e32 v40, 0, v40, vcc_lo
	v_cvt_f32_f64_e32 v73, v[66:67]
	v_cndmask_b32_e64 v41, 0, v41, s0
	v_fma_f64 v[60:61], v[56:57], s[22:23], s[20:21]
	v_rndne_f64_e32 v[52:53], v[52:53]
	v_cvt_f64_f32_e32 v[68:69], v68
	v_add_co_u32 v30, s1, s14, v30
	v_mul_f64 v[62:63], v[40:41], v[2:3]
	v_add_co_ci_u32_e64 v31, null, s15, v31, s1
	v_cmp_eq_u32_e64 s0, 0x41, v0
	v_fma_f64 v[28:29], v[58:59], v[28:29], s[40:41]
	v_fma_f64 v[60:61], v[56:57], v[60:61], s[24:25]
	;; [unrolled: 1-line block ×3, first 2 shown]
	global_store_dwordx2 v[30:31], v[68:69], off
	v_cvt_f32_f64_e32 v75, v[62:63]
	v_fma_f64 v[28:29], v[58:59], v[28:29], 1.0
	v_fma_f64 v[60:61], v[56:57], v[60:61], s[26:27]
	v_fma_f64 v[66:67], v[58:59], v[28:29], 1.0
	v_lshlrev_b64 v[28:29], 3, v[70:71]
	v_fma_f64 v[58:59], v[52:53], s[18:19], v[50:51]
	v_add_co_u32 v70, vcc_lo, s16, v28
	v_add_co_ci_u32_e64 v71, null, s17, v29, vcc_lo
	v_fma_f64 v[60:61], v[56:57], v[60:61], s[28:29]
	global_load_dwordx2 v[40:41], v[70:71], off
	v_fma_f64 v[64:65], v[54:55], s[22:23], s[20:21]
	v_fma_f64 v[70:71], v[58:59], s[22:23], s[20:21]
	;; [unrolled: 1-line block ×3, first 2 shown]
	v_sub_f32_e32 v60, v72, v73
	v_fma_f64 v[64:65], v[54:55], v[64:65], s[24:25]
	v_fma_f64 v[70:71], v[58:59], v[70:71], s[24:25]
	;; [unrolled: 1-line block ×3, first 2 shown]
	s_waitcnt vmcnt(2)
	v_cmp_ngt_f64_e64 s4, 0xc090cc00, v[42:43]
	v_fma_f64 v[64:65], v[54:55], v[64:65], s[26:27]
	v_fma_f64 v[64:65], v[54:55], v[64:65], s[28:29]
	;; [unrolled: 1-line block ×4, first 2 shown]
	v_add_nc_u32_e32 v64, 0x9fe34, v1
	v_ashrrev_i32_e32 v65, 31, v64
	v_lshlrev_b64 v[30:31], 3, v[64:65]
	v_add_co_u32 v64, vcc_lo, s14, v20
	v_add_co_ci_u32_e64 v65, null, s15, v21, vcc_lo
	v_add_co_u32 v20, vcc_lo, s16, v30
	v_add_co_ci_u32_e64 v21, null, s17, v31, vcc_lo
	v_cmp_eq_u32_e32 vcc_lo, 64, v0
	v_fma_f64 v[50:51], v[54:55], v[50:51], s[36:37]
	global_load_dwordx2 v[20:21], v[20:21], off
	v_cndmask_b32_e64 v73, -v73, v60, vcc_lo
	v_ldexp_f64 v[60:61], v[66:67], v74
	v_mul_f64 v[66:67], v[34:35], s[10:11]
	v_cmp_nlt_f64_e32 vcc_lo, 0x40900000, v[46:47]
	v_cvt_f64_f32_e32 v[62:63], v73
	v_fma_f64 v[73:74], v[54:55], v[50:51], s[38:39]
	v_rndne_f64_e32 v[50:51], v[66:67]
	v_fma_f64 v[66:67], v[58:59], v[70:71], s[26:27]
	v_mul_f64 v[70:71], v[38:39], s[10:11]
	global_store_dwordx2 v[64:65], v[62:63], off
	v_sub_f32_e32 v62, v72, v75
	v_cndmask_b32_e32 v61, 0x7ff00000, v61, vcc_lo
	v_cndmask_b32_e64 v64, -v75, v62, s0
	v_fma_f64 v[62:63], v[56:57], v[68:69], s[36:37]
	v_cmp_ngt_f64_e64 s0, 0xc090cc00, v[46:47]
	v_cvt_f64_f32_e32 v[46:47], v64
	v_fma_f64 v[68:69], v[54:55], v[73:74], s[40:41]
	v_add_co_u32 v73, s1, s14, v32
	v_add_co_ci_u32_e64 v74, null, s15, v33, s1
	v_cmp_eq_u32_e64 s1, 0x42, v0
	v_fma_f64 v[75:76], v[50:51], s[12:13], v[34:35]
	v_fma_f64 v[66:67], v[58:59], v[66:67], s[28:29]
	v_rndne_f64_e32 v[32:33], v[70:71]
	v_fma_f64 v[64:65], v[56:57], v[62:63], s[38:39]
	s_and_b32 vcc_lo, s0, vcc_lo
	v_cndmask_b32_e64 v71, 0, v61, s0
	v_cndmask_b32_e32 v70, 0, v60, vcc_lo
	global_store_dwordx2 v[73:74], v[46:47], off
	v_cmp_ngt_f64_e64 s0, 0xc090cc00, v[14:15]
	v_fma_f64 v[62:63], v[54:55], v[68:69], 1.0
	v_add_nc_u32_e32 v68, 0xa2050, v1
	v_mul_f64 v[70:71], v[70:71], v[2:3]
	s_waitcnt vmcnt(2)
	v_cmp_nlt_f64_e64 s5, 0x40900000, v[36:37]
	v_cmp_ngt_f64_e64 s6, 0xc090cc00, v[36:37]
	v_ashrrev_i32_e32 v69, 31, v68
	v_fma_f64 v[46:47], v[50:51], s[18:19], v[75:76]
	v_cvt_i32_f64_e32 v75, v[44:45]
	v_fma_f64 v[66:67], v[58:59], v[66:67], s[30:31]
	v_lshlrev_b64 v[60:61], 3, v[68:69]
	v_fma_f64 v[64:65], v[56:57], v[64:65], s[40:41]
	v_add_co_u32 v68, vcc_lo, s16, v60
	v_add_co_ci_u32_e64 v69, null, s17, v61, vcc_lo
	v_cmp_nlt_f64_e32 vcc_lo, 0x40900000, v[14:15]
	v_fma_f64 v[54:55], v[54:55], v[62:63], 1.0
	v_fma_f64 v[62:63], v[32:33], s[12:13], v[38:39]
	global_load_dwordx2 v[44:45], v[68:69], off
	v_mul_f64 v[14:15], v[42:43], s[10:11]
	v_fma_f64 v[73:74], v[46:47], s[22:23], s[20:21]
	v_fma_f64 v[66:67], v[58:59], v[66:67], s[34:35]
	v_fma_f64 v[64:65], v[56:57], v[64:65], 1.0
	v_ldexp_f64 v[54:55], v[54:55], v75
	v_fma_f64 v[62:63], v[32:33], s[18:19], v[62:63]
	v_cvt_f32_f64_e32 v75, v[70:71]
	v_fma_f64 v[68:69], v[46:47], v[73:74], s[24:25]
	v_cvt_i32_f64_e32 v73, v[48:49]
	v_fma_f64 v[66:67], v[58:59], v[66:67], s[36:37]
	v_rndne_f64_e32 v[48:49], v[14:15]
	v_fma_f64 v[56:57], v[56:57], v[64:65], 1.0
	v_cndmask_b32_e32 v55, 0x7ff00000, v55, vcc_lo
	v_fma_f64 v[64:65], v[62:63], s[22:23], s[20:21]
	s_and_b32 vcc_lo, s0, vcc_lo
	v_fma_f64 v[68:69], v[46:47], v[68:69], s[26:27]
	v_fma_f64 v[66:67], v[58:59], v[66:67], s[38:39]
	v_fma_f64 v[70:71], v[48:49], s[12:13], v[42:43]
	v_ldexp_f64 v[56:57], v[56:57], v73
	v_fma_f64 v[64:65], v[62:63], v[64:65], s[24:25]
	v_fma_f64 v[68:69], v[46:47], v[68:69], s[28:29]
	v_fma_f64 v[14:15], v[62:63], v[64:65], s[26:27]
	v_fma_f64 v[64:65], v[58:59], v[66:67], s[40:41]
	v_cndmask_b32_e64 v67, 0, v55, s0
	v_cndmask_b32_e32 v66, 0, v54, vcc_lo
	v_cmp_nlt_f64_e32 vcc_lo, 0x40900000, v[16:17]
	v_cmp_ngt_f64_e64 s0, 0xc090cc00, v[16:17]
	v_fma_f64 v[54:55], v[46:47], v[68:69], s[30:31]
	v_mul_f64 v[68:69], v[36:37], s[10:11]
	v_mul_f64 v[66:67], v[66:67], v[2:3]
	s_waitcnt vmcnt(2)
	v_cmp_nlt_f64_e64 s7, 0x40900000, v[40:41]
	v_cmp_ngt_f64_e64 s8, 0xc090cc00, v[40:41]
	v_fma_f64 v[14:15], v[62:63], v[14:15], s[28:29]
	v_fma_f64 v[64:65], v[58:59], v[64:65], 1.0
	v_fma_f64 v[73:74], v[46:47], v[54:55], s[34:35]
	v_rndne_f64_e32 v[54:55], v[68:69]
	v_fma_f64 v[68:69], v[48:49], s[18:19], v[70:71]
	v_cvt_i32_f64_e32 v70, v[52:53]
	v_cvt_f32_f64_e32 v67, v[66:67]
	v_cndmask_b32_e32 v71, 0x7ff00000, v57, vcc_lo
	v_sub_f32_e32 v66, v72, v75
	s_and_b32 vcc_lo, s0, vcc_lo
	v_fma_f64 v[14:15], v[62:63], v[14:15], s[30:31]
	v_fma_f64 v[58:59], v[58:59], v[64:65], 1.0
	v_fma_f64 v[16:17], v[46:47], v[73:74], s[36:37]
	v_fma_f64 v[52:53], v[54:55], s[12:13], v[36:37]
	;; [unrolled: 1-line block ×4, first 2 shown]
	v_ldexp_f64 v[57:58], v[58:59], v70
	v_cndmask_b32_e64 v59, -v75, v66, s1
	v_cndmask_b32_e64 v66, 0, v71, s0
	v_cmp_ngt_f64_e64 s0, 0xc090cc00, v[24:25]
	v_add_co_u32 v4, s1, s14, v4
	v_fma_f64 v[16:17], v[46:47], v[16:17], s[38:39]
	v_fma_f64 v[70:71], v[68:69], v[64:65], s[24:25]
	v_sub_f32_e32 v64, v72, v67
	v_cndmask_b32_e32 v65, 0, v56, vcc_lo
	v_cmp_eq_u32_e32 vcc_lo, 0x43, v0
	v_fma_f64 v[52:53], v[54:55], s[18:19], v[52:53]
	v_cvt_f64_f32_e32 v[73:74], v59
	v_add_co_ci_u32_e64 v5, null, s15, v5, s1
	v_cndmask_b32_e64 v56, -v67, v64, vcc_lo
	v_cmp_nlt_f64_e32 vcc_lo, 0x40900000, v[24:25]
	v_mul_f64 v[64:65], v[65:66], v[2:3]
	v_cvt_i32_f64_e32 v55, v[54:55]
	v_cvt_f64_f32_e32 v[66:67], v56
	v_fma_f64 v[14:15], v[62:63], v[14:15], s[36:37]
	v_fma_f64 v[24:25], v[46:47], v[16:17], s[40:41]
	;; [unrolled: 1-line block ×3, first 2 shown]
	global_store_dwordx2 v[4:5], v[73:74], off
	v_add_co_u32 v4, s1, s14, v8
	v_add_nc_u32_e32 v8, 0xa426c, v1
	v_cndmask_b32_e32 v56, 0x7ff00000, v58, vcc_lo
	v_fma_f64 v[58:59], v[52:53], s[22:23], s[20:21]
	v_add_co_ci_u32_e64 v5, null, s15, v9, s1
	v_ashrrev_i32_e32 v9, 31, v8
	v_fma_f64 v[14:15], v[62:63], v[14:15], s[38:39]
	v_cndmask_b32_e64 v17, 0, v56, s0
	v_add_nc_u32_e32 v56, 0xa6488, v1
	s_and_b32 vcc_lo, s0, vcc_lo
	global_store_dwordx2 v[4:5], v[66:67], off
	v_lshlrev_b64 v[4:5], 3, v[8:9]
	v_cndmask_b32_e32 v16, 0, v57, vcc_lo
	v_ashrrev_i32_e32 v57, 31, v56
	v_fma_f64 v[24:25], v[46:47], v[24:25], 1.0
	v_cvt_f32_f64_e32 v75, v[64:65]
	v_fma_f64 v[64:65], v[68:69], v[70:71], s[28:29]
	v_add_co_u32 v66, vcc_lo, s16, v4
	v_lshlrev_b64 v[8:9], 3, v[56:57]
	v_add_co_ci_u32_e64 v67, null, s17, v5, vcc_lo
	v_add_co_u32 v56, vcc_lo, s14, v6
	v_fma_f64 v[58:59], v[52:53], v[58:59], s[24:25]
	v_add_co_ci_u32_e64 v57, null, s15, v7, vcc_lo
	v_add_co_u32 v6, vcc_lo, s16, v8
	v_fma_f64 v[70:71], v[62:63], v[14:15], s[40:41]
	global_load_dwordx2 v[14:15], v[66:67], off
	v_add_co_ci_u32_e64 v7, null, s17, v9, vcc_lo
	v_mul_f64 v[73:74], v[40:41], s[10:11]
	v_cmp_eq_u32_e32 vcc_lo, 0x44, v0
	v_cmp_nlt_f64_e64 s1, 0x40900000, v[38:39]
	global_load_dwordx2 v[6:7], v[6:7], off
	v_fma_f64 v[24:25], v[46:47], v[24:25], 1.0
	v_fma_f64 v[64:65], v[68:69], v[64:65], s[30:31]
	v_cmp_ngt_f64_e64 s0, 0xc090cc00, v[34:35]
	v_mul_f64 v[16:17], v[16:17], v[2:3]
	s_waitcnt vmcnt(3)
	v_mul_f64 v[46:47], v[20:21], s[10:11]
	v_fma_f64 v[58:59], v[52:53], v[58:59], s[26:27]
	v_fma_f64 v[66:67], v[62:63], v[70:71], 1.0
	v_rndne_f64_e32 v[70:71], v[73:74]
	v_cvt_i32_f64_e32 v73, v[50:51]
	v_cvt_i32_f64_e32 v74, v[32:33]
	v_fma_f64 v[64:65], v[68:69], v[64:65], s[34:35]
	v_rndne_f64_e32 v[46:47], v[46:47]
	v_fma_f64 v[58:59], v[52:53], v[58:59], s[28:29]
	v_fma_f64 v[50:51], v[62:63], v[66:67], 1.0
	v_sub_f32_e32 v66, v72, v75
	v_fma_f64 v[62:63], v[70:71], s[12:13], v[40:41]
	v_cndmask_b32_e64 v75, -v75, v66, vcc_lo
	v_ldexp_f64 v[66:67], v[24:25], v73
	v_fma_f64 v[64:65], v[68:69], v[64:65], s[36:37]
	v_cvt_f64_f32_e32 v[24:25], v75
	v_fma_f64 v[32:33], v[46:47], s[12:13], v[20:21]
	v_cvt_i32_f64_e32 v37, v[46:47]
	v_fma_f64 v[58:59], v[52:53], v[58:59], s[30:31]
	v_ldexp_f64 v[50:51], v[50:51], v74
	v_fma_f64 v[62:63], v[70:71], s[18:19], v[62:63]
	v_fma_f64 v[64:65], v[68:69], v[64:65], s[38:39]
	global_store_dwordx2 v[56:57], v[24:25], off
	v_fma_f64 v[73:74], v[46:47], s[18:19], v[32:33]
	v_add_co_u32 v24, vcc_lo, s14, v12
	v_add_co_ci_u32_e64 v25, null, s15, v13, vcc_lo
	v_fma_f64 v[58:59], v[52:53], v[58:59], s[34:35]
	v_add_co_u32 v32, s3, s14, v22
	v_add_co_ci_u32_e64 v33, null, s15, v23, s3
	v_cndmask_b32_e64 v76, 0x7ff00000, v51, s1
	v_cmp_nlt_f64_e32 vcc_lo, 0x40900000, v[34:35]
	v_fma_f64 v[56:57], v[62:63], s[22:23], s[20:21]
	v_fma_f64 v[34:35], v[68:69], v[64:65], s[40:41]
	;; [unrolled: 1-line block ×3, first 2 shown]
	s_waitcnt vmcnt(2)
	v_mul_f64 v[38:39], v[44:45], s[10:11]
	v_fma_f64 v[22:23], v[52:53], v[58:59], s[36:37]
	v_cndmask_b32_e32 v75, 0x7ff00000, v67, vcc_lo
	s_and_b32 vcc_lo, s0, vcc_lo
	v_fma_f64 v[56:57], v[62:63], v[56:57], s[24:25]
	v_fma_f64 v[34:35], v[68:69], v[34:35], 1.0
	v_fma_f64 v[12:13], v[73:74], v[12:13], s[24:25]
	v_rndne_f64_e32 v[38:39], v[38:39]
	v_fma_f64 v[22:23], v[52:53], v[22:23], s[38:39]
	v_fma_f64 v[56:57], v[62:63], v[56:57], s[26:27]
	v_fma_f64 v[34:35], v[68:69], v[34:35], 1.0
	v_fma_f64 v[12:13], v[73:74], v[12:13], s[26:27]
	v_fma_f64 v[58:59], v[38:39], s[12:13], v[44:45]
	;; [unrolled: 1-line block ×6, first 2 shown]
	v_cvt_i32_f64_e32 v39, v[38:39]
	v_fma_f64 v[22:23], v[52:53], v[22:23], 1.0
	v_fma_f64 v[56:57], v[62:63], v[56:57], s[30:31]
	v_fma_f64 v[12:13], v[73:74], v[12:13], s[30:31]
	v_fma_f64 v[22:23], v[52:53], v[22:23], 1.0
	v_fma_f64 v[51:52], v[58:59], s[22:23], s[20:21]
	v_cvt_i32_f64_e32 v53, v[48:49]
	v_add_nc_u32_e32 v48, 0xa86a4, v1
	v_ashrrev_i32_e32 v49, 31, v48
	v_fma_f64 v[56:57], v[62:63], v[56:57], s[34:35]
	v_fma_f64 v[12:13], v[73:74], v[12:13], s[34:35]
	v_ldexp_f64 v[67:68], v[22:23], v55
	v_fma_f64 v[51:52], v[58:59], v[51:52], s[24:25]
	v_ldexp_f64 v[34:35], v[34:35], v53
	v_fma_f64 v[56:57], v[62:63], v[56:57], s[36:37]
	v_fma_f64 v[12:13], v[73:74], v[12:13], s[36:37]
	v_fma_f64 v[51:52], v[58:59], v[51:52], s[26:27]
	v_fma_f64 v[56:57], v[62:63], v[56:57], s[38:39]
	v_fma_f64 v[12:13], v[73:74], v[12:13], s[38:39]
	v_fma_f64 v[51:52], v[58:59], v[51:52], s[28:29]
	v_fma_f64 v[56:57], v[62:63], v[56:57], s[40:41]
	v_fma_f64 v[12:13], v[73:74], v[12:13], s[40:41]
	v_fma_f64 v[51:52], v[58:59], v[51:52], s[30:31]
	v_fma_f64 v[56:57], v[62:63], v[56:57], 1.0
	v_fma_f64 v[64:65], v[73:74], v[12:13], 1.0
	v_lshlrev_b64 v[12:13], 3, v[48:49]
	v_fma_f64 v[51:52], v[58:59], v[51:52], s[34:35]
	v_fma_f64 v[48:49], v[62:63], v[56:57], 1.0
	v_add_co_u32 v56, s3, s16, v12
	v_add_co_ci_u32_e64 v57, null, s17, v13, s3
	v_cmp_nlt_f64_e64 s3, 0x40900000, v[42:43]
	v_fma_f64 v[62:63], v[73:74], v[64:65], 1.0
	s_waitcnt vmcnt(1)
	v_mul_f64 v[64:65], v[14:15], s[10:11]
	global_load_dwordx2 v[56:57], v[56:57], off
	v_cndmask_b32_e64 v73, 0x7ff00000, v68, s5
	v_fma_f64 v[51:52], v[58:59], v[51:52], s[36:37]
	s_waitcnt vmcnt(1)
	v_mul_f64 v[53:54], v[6:7], s[10:11]
	v_cndmask_b32_e64 v55, 0x7ff00000, v35, s3
	v_rndne_f64_e32 v[64:65], v[64:65]
	v_fma_f64 v[22:23], v[58:59], v[51:52], s[38:39]
	v_rndne_f64_e32 v[51:52], v[53:54]
	v_cvt_i32_f64_e32 v53, v[70:71]
	v_fma_f64 v[42:43], v[64:65], s[12:13], v[14:15]
	v_fma_f64 v[22:23], v[58:59], v[22:23], s[40:41]
	;; [unrolled: 1-line block ×3, first 2 shown]
	v_ldexp_f64 v[48:49], v[48:49], v53
	v_fma_f64 v[42:43], v[64:65], s[18:19], v[42:43]
	v_cvt_i32_f64_e32 v64, v[64:65]
	v_fma_f64 v[22:23], v[58:59], v[22:23], 1.0
	v_fma_f64 v[35:36], v[51:52], s[18:19], v[35:36]
	v_cndmask_b32_e64 v74, 0x7ff00000, v49, s7
	v_fma_f64 v[40:41], v[42:43], s[22:23], s[20:21]
	v_fma_f64 v[53:54], v[58:59], v[22:23], 1.0
	v_fma_f64 v[22:23], v[35:36], s[22:23], s[20:21]
	v_fma_f64 v[40:41], v[42:43], v[40:41], s[24:25]
	;; [unrolled: 1-line block ×17, first 2 shown]
	v_fma_f64 v[40:41], v[42:43], v[40:41], 1.0
	v_fma_f64 v[58:59], v[35:36], v[22:23], 1.0
	v_add_nc_u32_e32 v22, 0xaa8c0, v1
	v_cvt_f32_f64_e32 v1, v[16:17]
	v_cndmask_b32_e64 v17, 0, v76, s2
	v_ashrrev_i32_e32 v23, 31, v22
	v_lshlrev_b64 v[22:23], 3, v[22:23]
	v_fma_f64 v[40:41], v[42:43], v[40:41], 1.0
	v_add_co_u32 v42, s9, s16, v22
	v_add_co_ci_u32_e64 v43, null, s17, v23, s9
	v_fma_f64 v[35:36], v[35:36], v[58:59], 1.0
	global_load_dwordx2 v[42:43], v[42:43], off
	v_sub_f32_e32 v16, v72, v1
	s_waitcnt vmcnt(1)
	v_mul_f64 v[58:59], v[56:57], s[10:11]
	v_rndne_f64_e32 v[58:59], v[58:59]
	v_fma_f64 v[68:69], v[58:59], s[12:13], v[56:57]
	v_fma_f64 v[68:69], v[58:59], s[18:19], v[68:69]
	;; [unrolled: 1-line block ×11, first 2 shown]
	v_fma_f64 v[70:71], v[68:69], v[70:71], 1.0
	v_fma_f64 v[68:69], v[68:69], v[70:71], 1.0
	v_cndmask_b32_e32 v70, 0, v66, vcc_lo
	v_cmp_eq_u32_e32 vcc_lo, 0x45, v0
	v_cndmask_b32_e64 v71, 0, v75, s0
	v_cvt_i32_f64_e32 v66, v[51:52]
	v_cmp_ngt_f64_e64 s0, 0xc090cc00, v[20:21]
	s_waitcnt vmcnt(0)
	v_mul_f64 v[46:47], v[42:43], s[10:11]
	v_cndmask_b32_e64 v1, -v1, v16, vcc_lo
	s_and_b32 vcc_lo, s2, s1
	s_and_b32 s1, s4, s3
	v_cndmask_b32_e32 v16, 0, v50, vcc_lo
	v_ldexp_f64 v[49:50], v[62:63], v37
	v_mul_f64 v[62:63], v[70:71], v[2:3]
	v_cmp_nlt_f64_e32 vcc_lo, 0x40900000, v[20:21]
	v_cvt_f64_f32_e32 v[51:52], v1
	v_mul_f64 v[16:17], v[16:17], v[2:3]
	v_cvt_i32_f64_e32 v1, v[58:59]
	v_cmp_eq_u32_e64 s3, 0x47, v0
	v_cmp_ngt_f64_e64 s2, 0xc090cc00, v[14:15]
	v_rndne_f64_e32 v[46:47], v[46:47]
	v_cvt_f32_f64_e32 v65, v[62:63]
	v_cndmask_b32_e32 v50, 0x7ff00000, v50, vcc_lo
	s_and_b32 vcc_lo, s0, vcc_lo
	v_cndmask_b32_e32 v49, 0, v49, vcc_lo
	v_cmp_nlt_f64_e32 vcc_lo, 0x40900000, v[44:45]
	v_cndmask_b32_e64 v50, 0, v50, s0
	v_cmp_ngt_f64_e64 s0, 0xc090cc00, v[44:45]
	v_ldexp_f64 v[58:59], v[68:69], v1
	v_mul_f64 v[44:45], v[49:50], v[2:3]
	v_fma_f64 v[37:38], v[46:47], s[12:13], v[42:43]
	v_fma_f64 v[37:38], v[46:47], s[18:19], v[37:38]
	;; [unrolled: 1-line block ×11, first 2 shown]
	v_fma_f64 v[62:63], v[37:38], v[62:63], 1.0
	v_fma_f64 v[20:21], v[37:38], v[62:63], 1.0
	v_cvt_i32_f64_e32 v62, v[46:47]
	v_cndmask_b32_e64 v38, 0, v55, s4
	v_cvt_f32_f64_e32 v55, v[16:17]
	v_cndmask_b32_e64 v37, 0, v34, s1
	s_and_b32 s1, s6, s5
	v_ldexp_f64 v[46:47], v[53:54], v39
	v_cndmask_b32_e64 v53, 0, v67, s1
	s_and_b32 s1, s8, s7
	v_ldexp_f64 v[39:40], v[40:41], v64
	v_cndmask_b32_e64 v16, 0, v48, s1
	v_sub_f32_e32 v41, v72, v65
	v_cmp_eq_u32_e64 s1, 0x46, v0
	v_cndmask_b32_e64 v54, 0, v73, s6
	v_mul_f64 v[37:38], v[37:38], v[2:3]
	v_ldexp_f64 v[34:35], v[35:36], v66
	v_cndmask_b32_e64 v17, 0, v74, s8
	v_cndmask_b32_e64 v36, -v65, v41, s1
	v_mul_f64 v[53:54], v[53:54], v[2:3]
	v_cmp_nlt_f64_e64 s1, 0x40900000, v[14:15]
	v_cmp_ngt_f64_e64 s4, 0xc090cc00, v[6:7]
	v_mul_f64 v[16:17], v[16:17], v[2:3]
	v_cmp_nlt_f64_e64 s5, 0x40900000, v[56:57]
	v_ldexp_f64 v[20:21], v[20:21], v62
	v_cvt_f64_f32_e32 v[62:63], v36
	v_sub_f32_e32 v36, v72, v55
	v_cmp_ngt_f64_e64 s6, 0xc090cc00, v[56:57]
	v_cmp_nlt_f64_e64 s7, 0x40900000, v[42:43]
	v_cmp_ngt_f64_e64 s8, 0xc090cc00, v[42:43]
	v_cndmask_b32_e32 v1, 0x7ff00000, v47, vcc_lo
	v_cndmask_b32_e64 v14, -v55, v36, s3
	v_cmp_nlt_f64_e64 s3, 0x40900000, v[6:7]
	s_and_b32 vcc_lo, s0, vcc_lo
	v_cvt_f32_f64_e32 v42, v[44:45]
	v_cndmask_b32_e64 v15, 0, v1, s0
	v_cvt_f64_f32_e32 v[6:7], v14
	v_cvt_f32_f64_e32 v36, v[37:38]
	v_cndmask_b32_e32 v14, 0, v46, vcc_lo
	global_store_dwordx2 v[24:25], v[51:52], off
	global_store_dwordx2 v[32:33], v[62:63], off
	v_cvt_f32_f64_e32 v38, v[53:54]
	v_cvt_f32_f64_e32 v41, v[16:17]
	s_and_b32 vcc_lo, s2, s1
	v_cndmask_b32_e64 v40, 0x7ff00000, v40, s1
	v_cndmask_b32_e32 v16, 0, v39, vcc_lo
	v_cndmask_b32_e64 v37, 0x7ff00000, v59, s5
	v_cndmask_b32_e64 v21, 0x7ff00000, v21, s7
	s_and_b32 vcc_lo, s4, s3
	v_cndmask_b32_e64 v35, 0x7ff00000, v35, s3
	v_cndmask_b32_e32 v24, 0, v34, vcc_lo
	s_and_b32 vcc_lo, s6, s5
	v_cndmask_b32_e64 v17, 0, v40, s2
	v_cndmask_b32_e32 v32, 0, v58, vcc_lo
	s_and_b32 vcc_lo, s8, s7
	v_mul_f64 v[14:15], v[14:15], v[2:3]
	v_cndmask_b32_e32 v20, 0, v20, vcc_lo
	v_add_co_u32 v10, vcc_lo, s14, v10
	v_sub_f32_e32 v39, v72, v36
	v_cndmask_b32_e64 v25, 0, v35, s4
	v_cndmask_b32_e64 v33, 0, v37, s6
	;; [unrolled: 1-line block ×3, first 2 shown]
	v_add_co_ci_u32_e64 v11, null, s15, v11, vcc_lo
	v_cmp_eq_u32_e32 vcc_lo, 0x48, v0
	v_mul_f64 v[16:17], v[16:17], v[2:3]
	v_sub_f32_e32 v34, v72, v38
	v_mul_f64 v[24:25], v[24:25], v[2:3]
	v_mul_f64 v[32:33], v[32:33], v[2:3]
	;; [unrolled: 1-line block ×3, first 2 shown]
	v_cndmask_b32_e64 v21, -v36, v39, vcc_lo
	v_cmp_eq_u32_e32 vcc_lo, 0x49, v0
	v_sub_f32_e32 v3, v72, v41
	v_sub_f32_e32 v20, v72, v42
	global_store_dwordx2 v[10:11], v[6:7], off
	v_cvt_f64_f32_e32 v[6:7], v21
	v_cndmask_b32_e64 v34, -v38, v34, vcc_lo
	v_cmp_eq_u32_e32 vcc_lo, 0x4a, v0
	v_cvt_f64_f32_e32 v[10:11], v34
	v_cndmask_b32_e64 v3, -v41, v3, vcc_lo
	v_cmp_eq_u32_e32 vcc_lo, 0x4b, v0
	v_cvt_f32_f64_e32 v36, v[16:17]
	v_cndmask_b32_e64 v35, -v42, v20, vcc_lo
	v_cvt_f64_f32_e32 v[20:21], v3
	v_cvt_f32_f64_e32 v3, v[14:15]
	v_cvt_f32_f64_e32 v24, v[24:25]
	;; [unrolled: 1-line block ×4, first 2 shown]
	v_add_co_u32 v1, vcc_lo, s14, v26
	v_add_co_ci_u32_e64 v2, null, s15, v27, vcc_lo
	v_add_co_u32 v14, vcc_lo, s14, v18
	v_add_co_ci_u32_e64 v15, null, s15, v19, vcc_lo
	;; [unrolled: 2-line block ×4, first 2 shown]
	global_store_dwordx2 v[1:2], v[6:7], off
	global_store_dwordx2 v[14:15], v[10:11], off
	v_cmp_eq_u32_e32 vcc_lo, 0x4c, v0
	v_sub_f32_e32 v1, v72, v3
	v_sub_f32_e32 v2, v72, v36
	;; [unrolled: 1-line block ×4, first 2 shown]
	v_cvt_f64_f32_e32 v[34:35], v35
	v_cndmask_b32_e64 v1, -v3, v1, vcc_lo
	v_cmp_eq_u32_e32 vcc_lo, 0x4d, v0
	v_sub_f32_e32 v10, v72, v32
	global_store_dwordx2 v[16:17], v[20:21], off
	global_store_dwordx2 v[18:19], v[34:35], off
	v_cndmask_b32_e64 v2, -v36, v2, vcc_lo
	v_cmp_eq_u32_e32 vcc_lo, 0x4e, v0
	v_cvt_f64_f32_e32 v[2:3], v2
	v_cndmask_b32_e64 v6, -v24, v6, vcc_lo
	v_cmp_eq_u32_e32 vcc_lo, 0x4f, v0
	v_cndmask_b32_e64 v11, -v25, v7, vcc_lo
	v_cmp_eq_u32_e32 vcc_lo, 0x50, v0
	v_cvt_f64_f32_e32 v[0:1], v1
	v_cvt_f64_f32_e32 v[6:7], v6
	v_cndmask_b32_e64 v14, -v32, v10, vcc_lo
	v_cvt_f64_f32_e32 v[10:11], v11
	v_add_co_u32 v16, vcc_lo, s14, v60
	v_add_co_ci_u32_e64 v17, null, s15, v61, vcc_lo
	v_cvt_f64_f32_e32 v[14:15], v14
	v_add_co_u32 v4, vcc_lo, s14, v4
	v_add_co_ci_u32_e64 v5, null, s15, v5, vcc_lo
	v_add_co_u32 v8, vcc_lo, s14, v8
	v_add_co_ci_u32_e64 v9, null, s15, v9, vcc_lo
	;; [unrolled: 2-line block ×4, first 2 shown]
	global_store_dwordx2 v[16:17], v[0:1], off
	global_store_dwordx2 v[4:5], v[2:3], off
	;; [unrolled: 1-line block ×5, first 2 shown]
.LBB2_4:
	s_endpgm
	.section	.rodata,"a",@progbits
	.p2align	6, 0x0
	.amdhsa_kernel _Z8loss_bwdIddEvPKT_PKT0_S5_PKlS2_S7_PS3_
		.amdhsa_group_segment_fixed_size 0
		.amdhsa_private_segment_fixed_size 0
		.amdhsa_kernarg_size 56
		.amdhsa_user_sgpr_count 6
		.amdhsa_user_sgpr_private_segment_buffer 1
		.amdhsa_user_sgpr_dispatch_ptr 0
		.amdhsa_user_sgpr_queue_ptr 0
		.amdhsa_user_sgpr_kernarg_segment_ptr 1
		.amdhsa_user_sgpr_dispatch_id 0
		.amdhsa_user_sgpr_flat_scratch_init 0
		.amdhsa_user_sgpr_private_segment_size 0
		.amdhsa_wavefront_size32 1
		.amdhsa_uses_dynamic_stack 0
		.amdhsa_system_sgpr_private_segment_wavefront_offset 0
		.amdhsa_system_sgpr_workgroup_id_x 1
		.amdhsa_system_sgpr_workgroup_id_y 1
		.amdhsa_system_sgpr_workgroup_id_z 0
		.amdhsa_system_sgpr_workgroup_info 0
		.amdhsa_system_vgpr_workitem_id 0
		.amdhsa_next_free_vgpr 81
		.amdhsa_next_free_sgpr 42
		.amdhsa_reserve_vcc 1
		.amdhsa_reserve_flat_scratch 0
		.amdhsa_float_round_mode_32 0
		.amdhsa_float_round_mode_16_64 0
		.amdhsa_float_denorm_mode_32 3
		.amdhsa_float_denorm_mode_16_64 3
		.amdhsa_dx10_clamp 1
		.amdhsa_ieee_mode 1
		.amdhsa_fp16_overflow 0
		.amdhsa_workgroup_processor_mode 1
		.amdhsa_memory_ordered 1
		.amdhsa_forward_progress 1
		.amdhsa_shared_vgpr_count 0
		.amdhsa_exception_fp_ieee_invalid_op 0
		.amdhsa_exception_fp_denorm_src 0
		.amdhsa_exception_fp_ieee_div_zero 0
		.amdhsa_exception_fp_ieee_overflow 0
		.amdhsa_exception_fp_ieee_underflow 0
		.amdhsa_exception_fp_ieee_inexact 0
		.amdhsa_exception_int_div_zero 0
	.end_amdhsa_kernel
	.section	.text._Z8loss_bwdIddEvPKT_PKT0_S5_PKlS2_S7_PS3_,"axG",@progbits,_Z8loss_bwdIddEvPKT_PKT0_S5_PKlS2_S7_PS3_,comdat
.Lfunc_end2:
	.size	_Z8loss_bwdIddEvPKT_PKT0_S5_PKlS2_S7_PS3_, .Lfunc_end2-_Z8loss_bwdIddEvPKT_PKT0_S5_PKlS2_S7_PS3_
                                        ; -- End function
	.set _Z8loss_bwdIddEvPKT_PKT0_S5_PKlS2_S7_PS3_.num_vgpr, 81
	.set _Z8loss_bwdIddEvPKT_PKT0_S5_PKlS2_S7_PS3_.num_agpr, 0
	.set _Z8loss_bwdIddEvPKT_PKT0_S5_PKlS2_S7_PS3_.numbered_sgpr, 42
	.set _Z8loss_bwdIddEvPKT_PKT0_S5_PKlS2_S7_PS3_.num_named_barrier, 0
	.set _Z8loss_bwdIddEvPKT_PKT0_S5_PKlS2_S7_PS3_.private_seg_size, 0
	.set _Z8loss_bwdIddEvPKT_PKT0_S5_PKlS2_S7_PS3_.uses_vcc, 1
	.set _Z8loss_bwdIddEvPKT_PKT0_S5_PKlS2_S7_PS3_.uses_flat_scratch, 0
	.set _Z8loss_bwdIddEvPKT_PKT0_S5_PKlS2_S7_PS3_.has_dyn_sized_stack, 0
	.set _Z8loss_bwdIddEvPKT_PKT0_S5_PKlS2_S7_PS3_.has_recursion, 0
	.set _Z8loss_bwdIddEvPKT_PKT0_S5_PKlS2_S7_PS3_.has_indirect_call, 0
	.section	.AMDGPU.csdata,"",@progbits
; Kernel info:
; codeLenInByte = 23280
; TotalNumSgprs: 44
; NumVgprs: 81
; ScratchSize: 0
; MemoryBound: 0
; FloatMode: 240
; IeeeMode: 1
; LDSByteSize: 0 bytes/workgroup (compile time only)
; SGPRBlocks: 0
; VGPRBlocks: 10
; NumSGPRsForWavesPerEU: 44
; NumVGPRsForWavesPerEU: 81
; Occupancy: 10
; WaveLimiterHint : 1
; COMPUTE_PGM_RSRC2:SCRATCH_EN: 0
; COMPUTE_PGM_RSRC2:USER_SGPR: 6
; COMPUTE_PGM_RSRC2:TRAP_HANDLER: 0
; COMPUTE_PGM_RSRC2:TGID_X_EN: 1
; COMPUTE_PGM_RSRC2:TGID_Y_EN: 1
; COMPUTE_PGM_RSRC2:TGID_Z_EN: 0
; COMPUTE_PGM_RSRC2:TIDIG_COMP_CNT: 0
	.text
	.p2alignl 6, 3214868480
	.fill 48, 4, 3214868480
	.section	.AMDGPU.gpr_maximums,"",@progbits
	.set amdgpu.max_num_vgpr, 0
	.set amdgpu.max_num_agpr, 0
	.set amdgpu.max_num_sgpr, 0
	.text
	.type	__hip_cuid_aa86f144523b5b3a,@object ; @__hip_cuid_aa86f144523b5b3a
	.section	.bss,"aw",@nobits
	.globl	__hip_cuid_aa86f144523b5b3a
__hip_cuid_aa86f144523b5b3a:
	.byte	0                               ; 0x0
	.size	__hip_cuid_aa86f144523b5b3a, 1

	.ident	"AMD clang version 22.0.0git (https://github.com/RadeonOpenCompute/llvm-project roc-7.2.4 26084 f58b06dce1f9c15707c5f808fd002e18c2accf7e)"
	.section	".note.GNU-stack","",@progbits
	.addrsig
	.addrsig_sym __hip_cuid_aa86f144523b5b3a
	.amdgpu_metadata
---
amdhsa.kernels:
  - .args:
      - .actual_access:  read_only
        .address_space:  global
        .offset:         0
        .size:           8
        .value_kind:     global_buffer
      - .actual_access:  read_only
        .address_space:  global
        .offset:         8
        .size:           8
        .value_kind:     global_buffer
      - .actual_access:  read_only
        .address_space:  global
        .offset:         16
        .size:           8
        .value_kind:     global_buffer
      - .actual_access:  read_only
        .address_space:  global
        .offset:         24
        .size:           8
        .value_kind:     global_buffer
      - .actual_access:  read_only
        .address_space:  global
        .offset:         32
        .size:           8
        .value_kind:     global_buffer
      - .actual_access:  read_only
        .address_space:  global
        .offset:         40
        .size:           8
        .value_kind:     global_buffer
      - .actual_access:  write_only
        .address_space:  global
        .offset:         48
        .size:           8
        .value_kind:     global_buffer
    .group_segment_fixed_size: 0
    .kernarg_segment_align: 8
    .kernarg_segment_size: 56
    .language:       OpenCL C
    .language_version:
      - 2
      - 0
    .max_flat_workgroup_size: 1024
    .name:           _Z8loss_bwdI6__halfS0_EvPKT_PKT0_S6_PKlS3_S8_PS4_
    .private_segment_fixed_size: 0
    .sgpr_count:     18
    .sgpr_spill_count: 0
    .symbol:         _Z8loss_bwdI6__halfS0_EvPKT_PKT0_S6_PKlS3_S8_PS4_.kd
    .uniform_work_group_size: 1
    .uses_dynamic_stack: false
    .vgpr_count:     65
    .vgpr_spill_count: 0
    .wavefront_size: 32
    .workgroup_processor_mode: 1
  - .args:
      - .actual_access:  read_only
        .address_space:  global
        .offset:         0
        .size:           8
        .value_kind:     global_buffer
      - .actual_access:  read_only
        .address_space:  global
        .offset:         8
        .size:           8
        .value_kind:     global_buffer
      - .actual_access:  read_only
        .address_space:  global
        .offset:         16
        .size:           8
        .value_kind:     global_buffer
      - .actual_access:  read_only
        .address_space:  global
        .offset:         24
        .size:           8
        .value_kind:     global_buffer
      - .actual_access:  read_only
        .address_space:  global
        .offset:         32
        .size:           8
        .value_kind:     global_buffer
      - .actual_access:  read_only
        .address_space:  global
        .offset:         40
        .size:           8
        .value_kind:     global_buffer
      - .actual_access:  write_only
        .address_space:  global
        .offset:         48
        .size:           8
        .value_kind:     global_buffer
    .group_segment_fixed_size: 0
    .kernarg_segment_align: 8
    .kernarg_segment_size: 56
    .language:       OpenCL C
    .language_version:
      - 2
      - 0
    .max_flat_workgroup_size: 1024
    .name:           _Z8loss_bwdIffEvPKT_PKT0_S5_PKlS2_S7_PS3_
    .private_segment_fixed_size: 0
    .sgpr_count:     18
    .sgpr_spill_count: 0
    .symbol:         _Z8loss_bwdIffEvPKT_PKT0_S5_PKlS2_S7_PS3_.kd
    .uniform_work_group_size: 1
    .uses_dynamic_stack: false
    .vgpr_count:     64
    .vgpr_spill_count: 0
    .wavefront_size: 32
    .workgroup_processor_mode: 1
  - .args:
      - .actual_access:  read_only
        .address_space:  global
        .offset:         0
        .size:           8
        .value_kind:     global_buffer
      - .actual_access:  read_only
        .address_space:  global
        .offset:         8
        .size:           8
        .value_kind:     global_buffer
      - .actual_access:  read_only
        .address_space:  global
        .offset:         16
        .size:           8
        .value_kind:     global_buffer
      - .actual_access:  read_only
        .address_space:  global
        .offset:         24
        .size:           8
        .value_kind:     global_buffer
      - .actual_access:  read_only
        .address_space:  global
        .offset:         32
        .size:           8
        .value_kind:     global_buffer
      - .actual_access:  read_only
        .address_space:  global
        .offset:         40
        .size:           8
        .value_kind:     global_buffer
      - .actual_access:  write_only
        .address_space:  global
        .offset:         48
        .size:           8
        .value_kind:     global_buffer
    .group_segment_fixed_size: 0
    .kernarg_segment_align: 8
    .kernarg_segment_size: 56
    .language:       OpenCL C
    .language_version:
      - 2
      - 0
    .max_flat_workgroup_size: 1024
    .name:           _Z8loss_bwdIddEvPKT_PKT0_S5_PKlS2_S7_PS3_
    .private_segment_fixed_size: 0
    .sgpr_count:     44
    .sgpr_spill_count: 0
    .symbol:         _Z8loss_bwdIddEvPKT_PKT0_S5_PKlS2_S7_PS3_.kd
    .uniform_work_group_size: 1
    .uses_dynamic_stack: false
    .vgpr_count:     81
    .vgpr_spill_count: 0
    .wavefront_size: 32
    .workgroup_processor_mode: 1
amdhsa.target:   amdgcn-amd-amdhsa--gfx1030
amdhsa.version:
  - 1
  - 2
...

	.end_amdgpu_metadata
